;; amdgpu-corpus repo=ROCm/rocFFT kind=compiled arch=gfx906 opt=O3
	.text
	.amdgcn_target "amdgcn-amd-amdhsa--gfx906"
	.amdhsa_code_object_version 6
	.protected	fft_rtc_back_len480_factors_10_8_6_wgs_64_tpt_16_halfLds_half_op_CI_CI_sbrr_dirReg ; -- Begin function fft_rtc_back_len480_factors_10_8_6_wgs_64_tpt_16_halfLds_half_op_CI_CI_sbrr_dirReg
	.globl	fft_rtc_back_len480_factors_10_8_6_wgs_64_tpt_16_halfLds_half_op_CI_CI_sbrr_dirReg
	.p2align	8
	.type	fft_rtc_back_len480_factors_10_8_6_wgs_64_tpt_16_halfLds_half_op_CI_CI_sbrr_dirReg,@function
fft_rtc_back_len480_factors_10_8_6_wgs_64_tpt_16_halfLds_half_op_CI_CI_sbrr_dirReg: ; @fft_rtc_back_len480_factors_10_8_6_wgs_64_tpt_16_halfLds_half_op_CI_CI_sbrr_dirReg
; %bb.0:
	s_load_dwordx4 s[16:19], s[4:5], 0x18
	s_load_dwordx4 s[12:15], s[4:5], 0x0
	;; [unrolled: 1-line block ×3, first 2 shown]
	v_lshrrev_b32_e32 v7, 4, v0
	v_mov_b32_e32 v3, 0
	s_waitcnt lgkmcnt(0)
	s_load_dwordx2 s[22:23], s[16:17], 0x0
	s_load_dwordx2 s[20:21], s[18:19], 0x0
	v_cmp_lt_u64_e64 s[0:1], s[14:15], 2
	v_mov_b32_e32 v1, 0
	v_lshl_or_b32 v5, s6, 2, v7
	v_mov_b32_e32 v6, v3
	s_and_b64 vcc, exec, s[0:1]
	v_mov_b32_e32 v2, 0
	s_cbranch_vccnz .LBB0_8
; %bb.1:
	s_load_dwordx2 s[0:1], s[4:5], 0x10
	s_add_u32 s2, s18, 8
	s_addc_u32 s3, s19, 0
	s_add_u32 s6, s16, 8
	v_mov_b32_e32 v1, 0
	s_addc_u32 s7, s17, 0
	v_mov_b32_e32 v2, 0
	s_waitcnt lgkmcnt(0)
	s_add_u32 s24, s0, 8
	v_mov_b32_e32 v17, v2
	s_addc_u32 s25, s1, 0
	s_mov_b64 s[26:27], 1
	v_mov_b32_e32 v16, v1
.LBB0_2:                                ; =>This Inner Loop Header: Depth=1
	s_load_dwordx2 s[28:29], s[24:25], 0x0
                                        ; implicit-def: $vgpr18_vgpr19
	s_waitcnt lgkmcnt(0)
	v_or_b32_e32 v4, s29, v6
	v_cmp_ne_u64_e32 vcc, 0, v[3:4]
	s_and_saveexec_b64 s[0:1], vcc
	s_xor_b64 s[30:31], exec, s[0:1]
	s_cbranch_execz .LBB0_4
; %bb.3:                                ;   in Loop: Header=BB0_2 Depth=1
	v_cvt_f32_u32_e32 v4, s28
	v_cvt_f32_u32_e32 v8, s29
	s_sub_u32 s0, 0, s28
	s_subb_u32 s1, 0, s29
	v_mac_f32_e32 v4, 0x4f800000, v8
	v_rcp_f32_e32 v4, v4
	v_mul_f32_e32 v4, 0x5f7ffffc, v4
	v_mul_f32_e32 v8, 0x2f800000, v4
	v_trunc_f32_e32 v8, v8
	v_mac_f32_e32 v4, 0xcf800000, v8
	v_cvt_u32_f32_e32 v8, v8
	v_cvt_u32_f32_e32 v4, v4
	v_mul_lo_u32 v9, s0, v8
	v_mul_hi_u32 v10, s0, v4
	v_mul_lo_u32 v12, s1, v4
	v_mul_lo_u32 v11, s0, v4
	v_add_u32_e32 v9, v10, v9
	v_add_u32_e32 v9, v9, v12
	v_mul_hi_u32 v10, v4, v11
	v_mul_lo_u32 v12, v4, v9
	v_mul_hi_u32 v14, v4, v9
	v_mul_hi_u32 v13, v8, v11
	v_mul_lo_u32 v11, v8, v11
	v_mul_hi_u32 v15, v8, v9
	v_add_co_u32_e32 v10, vcc, v10, v12
	v_addc_co_u32_e32 v12, vcc, 0, v14, vcc
	v_mul_lo_u32 v9, v8, v9
	v_add_co_u32_e32 v10, vcc, v10, v11
	v_addc_co_u32_e32 v10, vcc, v12, v13, vcc
	v_addc_co_u32_e32 v11, vcc, 0, v15, vcc
	v_add_co_u32_e32 v9, vcc, v10, v9
	v_addc_co_u32_e32 v10, vcc, 0, v11, vcc
	v_add_co_u32_e32 v4, vcc, v4, v9
	v_addc_co_u32_e32 v8, vcc, v8, v10, vcc
	v_mul_lo_u32 v9, s0, v8
	v_mul_hi_u32 v10, s0, v4
	v_mul_lo_u32 v11, s1, v4
	v_mul_lo_u32 v12, s0, v4
	v_add_u32_e32 v9, v10, v9
	v_add_u32_e32 v9, v9, v11
	v_mul_lo_u32 v13, v4, v9
	v_mul_hi_u32 v14, v4, v12
	v_mul_hi_u32 v15, v4, v9
	;; [unrolled: 1-line block ×3, first 2 shown]
	v_mul_lo_u32 v12, v8, v12
	v_mul_hi_u32 v10, v8, v9
	v_add_co_u32_e32 v13, vcc, v14, v13
	v_addc_co_u32_e32 v14, vcc, 0, v15, vcc
	v_mul_lo_u32 v9, v8, v9
	v_add_co_u32_e32 v12, vcc, v13, v12
	v_addc_co_u32_e32 v11, vcc, v14, v11, vcc
	v_addc_co_u32_e32 v10, vcc, 0, v10, vcc
	v_add_co_u32_e32 v9, vcc, v11, v9
	v_addc_co_u32_e32 v10, vcc, 0, v10, vcc
	v_add_co_u32_e32 v4, vcc, v4, v9
	v_addc_co_u32_e32 v10, vcc, v8, v10, vcc
	v_mad_u64_u32 v[8:9], s[0:1], v5, v10, 0
	v_mul_hi_u32 v11, v5, v4
	v_add_co_u32_e32 v12, vcc, v11, v8
	v_addc_co_u32_e32 v13, vcc, 0, v9, vcc
	v_mad_u64_u32 v[8:9], s[0:1], v6, v4, 0
	v_mad_u64_u32 v[10:11], s[0:1], v6, v10, 0
	v_add_co_u32_e32 v4, vcc, v12, v8
	v_addc_co_u32_e32 v4, vcc, v13, v9, vcc
	v_addc_co_u32_e32 v8, vcc, 0, v11, vcc
	v_add_co_u32_e32 v4, vcc, v4, v10
	v_addc_co_u32_e32 v10, vcc, 0, v8, vcc
	v_mul_lo_u32 v11, s29, v4
	v_mul_lo_u32 v12, s28, v10
	v_mad_u64_u32 v[8:9], s[0:1], s28, v4, 0
	v_add3_u32 v9, v9, v12, v11
	v_sub_u32_e32 v11, v6, v9
	v_mov_b32_e32 v12, s29
	v_sub_co_u32_e32 v8, vcc, v5, v8
	v_subb_co_u32_e64 v11, s[0:1], v11, v12, vcc
	v_subrev_co_u32_e64 v12, s[0:1], s28, v8
	v_subbrev_co_u32_e64 v11, s[0:1], 0, v11, s[0:1]
	v_cmp_le_u32_e64 s[0:1], s29, v11
	v_cndmask_b32_e64 v13, 0, -1, s[0:1]
	v_cmp_le_u32_e64 s[0:1], s28, v12
	v_cndmask_b32_e64 v12, 0, -1, s[0:1]
	v_cmp_eq_u32_e64 s[0:1], s29, v11
	v_cndmask_b32_e64 v11, v13, v12, s[0:1]
	v_add_co_u32_e64 v12, s[0:1], 2, v4
	v_addc_co_u32_e64 v13, s[0:1], 0, v10, s[0:1]
	v_add_co_u32_e64 v14, s[0:1], 1, v4
	v_addc_co_u32_e64 v15, s[0:1], 0, v10, s[0:1]
	v_subb_co_u32_e32 v9, vcc, v6, v9, vcc
	v_cmp_ne_u32_e64 s[0:1], 0, v11
	v_cmp_le_u32_e32 vcc, s29, v9
	v_cndmask_b32_e64 v11, v15, v13, s[0:1]
	v_cndmask_b32_e64 v13, 0, -1, vcc
	v_cmp_le_u32_e32 vcc, s28, v8
	v_cndmask_b32_e64 v8, 0, -1, vcc
	v_cmp_eq_u32_e32 vcc, s29, v9
	v_cndmask_b32_e32 v8, v13, v8, vcc
	v_cmp_ne_u32_e32 vcc, 0, v8
	v_cndmask_b32_e64 v8, v14, v12, s[0:1]
	v_cndmask_b32_e32 v19, v10, v11, vcc
	v_cndmask_b32_e32 v18, v4, v8, vcc
.LBB0_4:                                ;   in Loop: Header=BB0_2 Depth=1
	s_andn2_saveexec_b64 s[0:1], s[30:31]
	s_cbranch_execz .LBB0_6
; %bb.5:                                ;   in Loop: Header=BB0_2 Depth=1
	v_cvt_f32_u32_e32 v4, s28
	s_sub_i32 s30, 0, s28
	v_mov_b32_e32 v19, v3
	v_rcp_iflag_f32_e32 v4, v4
	v_mul_f32_e32 v4, 0x4f7ffffe, v4
	v_cvt_u32_f32_e32 v4, v4
	v_mul_lo_u32 v8, s30, v4
	v_mul_hi_u32 v8, v4, v8
	v_add_u32_e32 v4, v4, v8
	v_mul_hi_u32 v4, v5, v4
	v_mul_lo_u32 v8, v4, s28
	v_add_u32_e32 v9, 1, v4
	v_sub_u32_e32 v8, v5, v8
	v_subrev_u32_e32 v10, s28, v8
	v_cmp_le_u32_e32 vcc, s28, v8
	v_cndmask_b32_e32 v8, v8, v10, vcc
	v_cndmask_b32_e32 v4, v4, v9, vcc
	v_add_u32_e32 v9, 1, v4
	v_cmp_le_u32_e32 vcc, s28, v8
	v_cndmask_b32_e32 v18, v4, v9, vcc
.LBB0_6:                                ;   in Loop: Header=BB0_2 Depth=1
	s_or_b64 exec, exec, s[0:1]
	v_mul_lo_u32 v4, v19, s28
	v_mul_lo_u32 v10, v18, s29
	v_mad_u64_u32 v[8:9], s[0:1], v18, s28, 0
	s_load_dwordx2 s[0:1], s[6:7], 0x0
	s_load_dwordx2 s[28:29], s[2:3], 0x0
	v_add3_u32 v4, v9, v10, v4
	v_sub_co_u32_e32 v5, vcc, v5, v8
	v_subb_co_u32_e32 v4, vcc, v6, v4, vcc
	s_waitcnt lgkmcnt(0)
	v_mul_lo_u32 v6, s0, v4
	v_mul_lo_u32 v8, s1, v5
	v_mad_u64_u32 v[1:2], s[0:1], s0, v5, v[1:2]
	v_mul_lo_u32 v4, s28, v4
	v_mul_lo_u32 v9, s29, v5
	v_mad_u64_u32 v[16:17], s[0:1], s28, v5, v[16:17]
	s_add_u32 s26, s26, 1
	s_addc_u32 s27, s27, 0
	s_add_u32 s2, s2, 8
	v_add3_u32 v17, v9, v17, v4
	s_addc_u32 s3, s3, 0
	v_mov_b32_e32 v4, s14
	s_add_u32 s6, s6, 8
	v_mov_b32_e32 v5, s15
	s_addc_u32 s7, s7, 0
	v_cmp_ge_u64_e32 vcc, s[26:27], v[4:5]
	s_add_u32 s24, s24, 8
	v_add3_u32 v2, v8, v2, v6
	s_addc_u32 s25, s25, 0
	s_cbranch_vccnz .LBB0_9
; %bb.7:                                ;   in Loop: Header=BB0_2 Depth=1
	v_mov_b32_e32 v5, v18
	v_mov_b32_e32 v6, v19
	s_branch .LBB0_2
.LBB0_8:
	v_mov_b32_e32 v17, v2
	v_mov_b32_e32 v19, v6
	;; [unrolled: 1-line block ×4, first 2 shown]
.LBB0_9:
	s_load_dwordx2 s[0:1], s[4:5], 0x28
	s_lshl_b64 s[6:7], s[14:15], 3
	s_add_u32 s2, s18, s6
	s_addc_u32 s3, s19, s7
	v_and_b32_e32 v20, 15, v0
	s_waitcnt lgkmcnt(0)
	v_cmp_gt_u64_e32 vcc, s[0:1], v[18:19]
	v_cmp_le_u64_e64 s[0:1], s[0:1], v[18:19]
                                        ; implicit-def: $vgpr22
                                        ; implicit-def: $vgpr23
                                        ; implicit-def: $vgpr21
	s_and_saveexec_b64 s[4:5], s[0:1]
	s_xor_b64 s[0:1], exec, s[4:5]
; %bb.10:
	v_and_b32_e32 v20, 15, v0
	v_or_b32_e32 v22, 16, v20
	v_or_b32_e32 v23, 32, v20
	;; [unrolled: 1-line block ×3, first 2 shown]
                                        ; implicit-def: $vgpr1_vgpr2
; %bb.11:
	s_or_saveexec_b64 s[4:5], s[0:1]
                                        ; implicit-def: $vgpr49
                                        ; implicit-def: $vgpr24
                                        ; implicit-def: $vgpr45
                                        ; implicit-def: $vgpr28
                                        ; implicit-def: $vgpr51
                                        ; implicit-def: $vgpr0
                                        ; implicit-def: $vgpr48
                                        ; implicit-def: $vgpr65
                                        ; implicit-def: $vgpr53
                                        ; implicit-def: $vgpr3
                                        ; implicit-def: $vgpr52
                                        ; implicit-def: $vgpr66
                                        ; implicit-def: $vgpr55
                                        ; implicit-def: $vgpr4
                                        ; implicit-def: $vgpr54
                                        ; implicit-def: $vgpr69
                                        ; implicit-def: $vgpr57
                                        ; implicit-def: $vgpr8
                                        ; implicit-def: $vgpr56
                                        ; implicit-def: $vgpr70
                                        ; implicit-def: $vgpr39
                                        ; implicit-def: $vgpr26
                                        ; implicit-def: $vgpr35
                                        ; implicit-def: $vgpr27
                                        ; implicit-def: $vgpr41
                                        ; implicit-def: $vgpr5
                                        ; implicit-def: $vgpr38
                                        ; implicit-def: $vgpr58
                                        ; implicit-def: $vgpr43
                                        ; implicit-def: $vgpr6
                                        ; implicit-def: $vgpr42
                                        ; implicit-def: $vgpr59
                                        ; implicit-def: $vgpr46
                                        ; implicit-def: $vgpr10
                                        ; implicit-def: $vgpr44
                                        ; implicit-def: $vgpr67
                                        ; implicit-def: $vgpr50
                                        ; implicit-def: $vgpr11
                                        ; implicit-def: $vgpr47
                                        ; implicit-def: $vgpr68
                                        ; implicit-def: $vgpr30
                                        ; implicit-def: $vgpr25
                                        ; implicit-def: $vgpr14
                                        ; implicit-def: $vgpr60
                                        ; implicit-def: $vgpr31
                                        ; implicit-def: $vgpr9
                                        ; implicit-def: $vgpr15
                                        ; implicit-def: $vgpr61
                                        ; implicit-def: $vgpr33
                                        ; implicit-def: $vgpr12
                                        ; implicit-def: $vgpr32
                                        ; implicit-def: $vgpr62
                                        ; implicit-def: $vgpr36
                                        ; implicit-def: $vgpr13
                                        ; implicit-def: $vgpr34
                                        ; implicit-def: $vgpr63
                                        ; implicit-def: $vgpr40
                                        ; implicit-def: $vgpr29
                                        ; implicit-def: $vgpr37
                                        ; implicit-def: $vgpr64
	s_xor_b64 exec, exec, s[4:5]
	s_cbranch_execz .LBB0_13
; %bb.12:
	s_add_u32 s0, s16, s6
	s_addc_u32 s1, s17, s7
	s_load_dwordx2 s[0:1], s[0:1], 0x0
	v_mad_u64_u32 v[3:4], s[6:7], s22, v20, 0
	v_or_b32_e32 v21, 48, v20
	v_or_b32_e32 v13, 0x60, v20
	s_waitcnt lgkmcnt(0)
	v_mul_lo_u32 v10, s1, v18
	v_mul_lo_u32 v11, s0, v19
	v_mad_u64_u32 v[5:6], s[0:1], s0, v18, 0
	v_mov_b32_e32 v0, v4
	v_mad_u64_u32 v[8:9], s[0:1], s23, v20, v[0:1]
	v_add3_u32 v6, v6, v11, v10
	v_lshlrev_b64 v[5:6], 2, v[5:6]
	v_mov_b32_e32 v4, v8
	v_mov_b32_e32 v0, s9
	v_add_co_u32_e64 v8, s[0:1], s8, v5
	v_addc_co_u32_e64 v0, s[0:1], v0, v6, s[0:1]
	v_mad_u64_u32 v[5:6], s[0:1], s22, v21, 0
	v_lshlrev_b64 v[1:2], 2, v[1:2]
	v_lshlrev_b64 v[3:4], 2, v[3:4]
	v_add_co_u32_e64 v1, s[0:1], v8, v1
	v_addc_co_u32_e64 v2, s[0:1], v0, v2, s[0:1]
	v_mov_b32_e32 v0, v6
	v_mad_u64_u32 v[8:9], s[0:1], s23, v21, v[0:1]
	v_mad_u64_u32 v[9:10], s[0:1], s22, v13, 0
	v_add_co_u32_e64 v11, s[0:1], v1, v3
	v_mov_b32_e32 v6, v8
	v_mov_b32_e32 v0, v10
	v_addc_co_u32_e64 v12, s[0:1], v2, v4, s[0:1]
	v_lshlrev_b64 v[3:4], 2, v[5:6]
	v_mad_u64_u32 v[5:6], s[0:1], s23, v13, v[0:1]
	v_or_b32_e32 v6, 0x90, v20
	v_mad_u64_u32 v[13:14], s[0:1], s22, v6, 0
	v_add_co_u32_e64 v22, s[0:1], v1, v3
	v_mov_b32_e32 v0, v14
	v_addc_co_u32_e64 v23, s[0:1], v2, v4, s[0:1]
	v_mov_b32_e32 v10, v5
	v_mad_u64_u32 v[5:6], s[0:1], s23, v6, v[0:1]
	v_or_b32_e32 v6, 0xc0, v20
	v_lshlrev_b64 v[3:4], 2, v[9:10]
	v_mad_u64_u32 v[8:9], s[0:1], s22, v6, 0
	v_add_co_u32_e64 v25, s[0:1], v1, v3
	v_mov_b32_e32 v0, v9
	v_addc_co_u32_e64 v26, s[0:1], v2, v4, s[0:1]
	v_mov_b32_e32 v14, v5
	v_mad_u64_u32 v[5:6], s[0:1], s23, v6, v[0:1]
	v_or_b32_e32 v6, 0xf0, v20
	v_lshlrev_b64 v[3:4], 2, v[13:14]
	;; [unrolled: 8-line block ×4, first 2 shown]
	v_mad_u64_u32 v[13:14], s[0:1], s22, v6, 0
	v_add_co_u32_e64 v33, s[0:1], v1, v3
	v_mov_b32_e32 v0, v14
	v_addc_co_u32_e64 v34, s[0:1], v2, v4, s[0:1]
	v_mov_b32_e32 v9, v5
	v_mad_u64_u32 v[5:6], s[0:1], s23, v6, v[0:1]
	v_lshlrev_b64 v[3:4], 2, v[8:9]
	v_or_b32_e32 v10, 0x180, v20
	v_add_co_u32_e64 v8, s[0:1], v1, v3
	v_addc_co_u32_e64 v9, s[0:1], v2, v4, s[0:1]
	v_mov_b32_e32 v14, v5
	v_mad_u64_u32 v[5:6], s[0:1], s22, v10, 0
	v_lshlrev_b64 v[3:4], 2, v[13:14]
	v_add_co_u32_e64 v13, s[0:1], v1, v3
	v_mov_b32_e32 v0, v6
	v_addc_co_u32_e64 v14, s[0:1], v2, v4, s[0:1]
	v_mad_u64_u32 v[27:28], s[0:1], s23, v10, v[0:1]
	v_or_b32_e32 v10, 0x1b0, v20
	v_mad_u64_u32 v[35:36], s[0:1], s22, v10, 0
	global_load_dword v24, v[11:12], off
	global_load_dword v28, v[22:23], off
	;; [unrolled: 1-line block ×8, first 2 shown]
	v_or_b32_e32 v22, 16, v20
	v_mov_b32_e32 v8, v36
	v_mad_u64_u32 v[8:9], s[0:1], s23, v10, v[8:9]
	v_mad_u64_u32 v[9:10], s[0:1], s22, v22, 0
	v_mov_b32_e32 v6, v27
	v_lshlrev_b64 v[5:6], 2, v[5:6]
	v_mov_b32_e32 v36, v8
	v_add_co_u32_e64 v11, s[0:1], v1, v5
	v_mov_b32_e32 v8, v10
	v_addc_co_u32_e64 v12, s[0:1], v2, v6, s[0:1]
	v_mad_u64_u32 v[13:14], s[0:1], s23, v22, v[8:9]
	v_or_b32_e32 v23, 64, v20
	v_mad_u64_u32 v[14:15], s[0:1], s22, v23, 0
	v_lshlrev_b64 v[5:6], 2, v[35:36]
	v_mov_b32_e32 v10, v13
	v_add_co_u32_e64 v29, s[0:1], v1, v5
	v_mov_b32_e32 v8, v15
	v_addc_co_u32_e64 v30, s[0:1], v2, v6, s[0:1]
	v_lshlrev_b64 v[5:6], 2, v[9:10]
	v_mad_u64_u32 v[8:9], s[0:1], s23, v23, v[8:9]
	v_or_b32_e32 v13, 0x70, v20
	v_mad_u64_u32 v[9:10], s[0:1], s22, v13, 0
	v_add_co_u32_e64 v31, s[0:1], v1, v5
	v_mov_b32_e32 v15, v8
	v_mov_b32_e32 v8, v10
	v_addc_co_u32_e64 v32, s[0:1], v2, v6, s[0:1]
	v_lshlrev_b64 v[5:6], 2, v[14:15]
	v_mad_u64_u32 v[13:14], s[0:1], s23, v13, v[8:9]
	v_or_b32_e32 v23, 0xa0, v20
	v_mad_u64_u32 v[14:15], s[0:1], s22, v23, 0
	v_add_co_u32_e64 v33, s[0:1], v1, v5
	v_mov_b32_e32 v10, v13
	;; [unrolled: 8-line block ×4, first 2 shown]
	v_mov_b32_e32 v8, v15
	v_addc_co_u32_e64 v38, s[0:1], v2, v6, s[0:1]
	v_lshlrev_b64 v[5:6], 2, v[9:10]
	v_mad_u64_u32 v[8:9], s[0:1], s23, v23, v[8:9]
	v_add_co_u32_e64 v9, s[0:1], v1, v5
	v_mov_b32_e32 v15, v8
	v_or_b32_e32 v8, 0x130, v20
	v_addc_co_u32_e64 v10, s[0:1], v2, v6, s[0:1]
	v_lshlrev_b64 v[5:6], 2, v[14:15]
	v_mad_u64_u32 v[13:14], s[0:1], s22, v8, 0
	v_add_co_u32_e64 v39, s[0:1], v1, v5
	v_mov_b32_e32 v5, v14
	v_addc_co_u32_e64 v40, s[0:1], v2, v6, s[0:1]
	v_mad_u64_u32 v[14:15], s[0:1], s23, v8, v[5:6]
	v_or_b32_e32 v15, 0x160, v20
	v_mad_u64_u32 v[41:42], s[0:1], s22, v15, 0
	global_load_dword v8, v[11:12], off
	global_load_dword v70, v[29:30], off
	;; [unrolled: 1-line block ×8, first 2 shown]
	v_or_b32_e32 v23, 0x190, v20
	v_mov_b32_e32 v11, v42
	v_mad_u64_u32 v[11:12], s[0:1], s23, v15, v[11:12]
	v_lshlrev_b64 v[9:10], 2, v[13:14]
	v_mad_u64_u32 v[12:13], s[0:1], s22, v23, 0
	v_add_co_u32_e64 v14, s[0:1], v1, v9
	v_mov_b32_e32 v42, v11
	v_mov_b32_e32 v11, v13
	v_addc_co_u32_e64 v15, s[0:1], v2, v10, s[0:1]
	v_mad_u64_u32 v[29:30], s[0:1], s23, v23, v[11:12]
	v_or_b32_e32 v23, 0x1c0, v20
	v_mad_u64_u32 v[30:31], s[0:1], s22, v23, 0
	v_lshlrev_b64 v[9:10], 2, v[41:42]
	v_mov_b32_e32 v13, v29
	v_add_co_u32_e64 v32, s[0:1], v1, v9
	v_mov_b32_e32 v11, v31
	v_addc_co_u32_e64 v33, s[0:1], v2, v10, s[0:1]
	v_lshlrev_b64 v[9:10], 2, v[12:13]
	v_mad_u64_u32 v[11:12], s[0:1], s23, v23, v[11:12]
	v_or_b32_e32 v23, 32, v20
	v_mad_u64_u32 v[12:13], s[0:1], s22, v23, 0
	v_add_co_u32_e64 v34, s[0:1], v1, v9
	v_mov_b32_e32 v31, v11
	v_mov_b32_e32 v11, v13
	v_addc_co_u32_e64 v35, s[0:1], v2, v10, s[0:1]
	v_lshlrev_b64 v[9:10], 2, v[30:31]
	v_mad_u64_u32 v[29:30], s[0:1], s23, v23, v[11:12]
	v_or_b32_e32 v25, 0x50, v20
	v_mad_u64_u32 v[30:31], s[0:1], s22, v25, 0
	v_add_co_u32_e64 v36, s[0:1], v1, v9
	v_mov_b32_e32 v13, v29
	v_mov_b32_e32 v11, v31
	v_addc_co_u32_e64 v37, s[0:1], v2, v10, s[0:1]
	v_lshlrev_b64 v[9:10], 2, v[12:13]
	v_mad_u64_u32 v[11:12], s[0:1], s23, v25, v[11:12]
	v_or_b32_e32 v25, 0x80, v20
	v_mad_u64_u32 v[12:13], s[0:1], s22, v25, 0
	v_add_co_u32_e64 v38, s[0:1], v1, v9
	v_mov_b32_e32 v31, v11
	v_mov_b32_e32 v11, v13
	v_addc_co_u32_e64 v39, s[0:1], v2, v10, s[0:1]
	v_lshlrev_b64 v[9:10], 2, v[30:31]
	v_mad_u64_u32 v[29:30], s[0:1], s23, v25, v[11:12]
	v_or_b32_e32 v25, 0xb0, v20
	v_mad_u64_u32 v[30:31], s[0:1], s22, v25, 0
	v_add_co_u32_e64 v40, s[0:1], v1, v9
	v_mov_b32_e32 v13, v29
	v_mov_b32_e32 v11, v31
	v_addc_co_u32_e64 v41, s[0:1], v2, v10, s[0:1]
	v_lshlrev_b64 v[9:10], 2, v[12:13]
	v_mad_u64_u32 v[11:12], s[0:1], s23, v25, v[11:12]
	v_add_co_u32_e64 v12, s[0:1], v1, v9
	v_mov_b32_e32 v31, v11
	v_or_b32_e32 v11, 0xe0, v20
	v_addc_co_u32_e64 v13, s[0:1], v2, v10, s[0:1]
	v_lshlrev_b64 v[9:10], 2, v[30:31]
	v_mad_u64_u32 v[29:30], s[0:1], s22, v11, 0
	v_add_co_u32_e64 v42, s[0:1], v1, v9
	v_mov_b32_e32 v9, v30
	v_addc_co_u32_e64 v43, s[0:1], v2, v10, s[0:1]
	v_mad_u64_u32 v[30:31], s[0:1], s23, v11, v[9:10]
	v_or_b32_e32 v31, 0x110, v20
	v_mad_u64_u32 v[44:45], s[0:1], s22, v31, 0
	global_load_dword v10, v[14:15], off
	global_load_dword v67, v[32:33], off
	;; [unrolled: 1-line block ×8, first 2 shown]
	v_lshlrev_b64 v[12:13], 2, v[29:30]
	v_mov_b32_e32 v14, v45
	v_mad_u64_u32 v[14:15], s[0:1], s23, v31, v[14:15]
	v_or_b32_e32 v15, 0x140, v20
	v_mad_u64_u32 v[29:30], s[0:1], s22, v15, 0
	v_add_co_u32_e64 v31, s[0:1], v1, v12
	v_mov_b32_e32 v45, v14
	v_mov_b32_e32 v14, v30
	v_addc_co_u32_e64 v32, s[0:1], v2, v13, s[0:1]
	v_mad_u64_u32 v[14:15], s[0:1], s23, v15, v[14:15]
	v_or_b32_e32 v15, 0x170, v20
	v_mad_u64_u32 v[33:34], s[0:1], s22, v15, 0
	v_lshlrev_b64 v[12:13], 2, v[44:45]
	v_mov_b32_e32 v30, v14
	v_add_co_u32_e64 v35, s[0:1], v1, v12
	v_mov_b32_e32 v14, v34
	v_addc_co_u32_e64 v36, s[0:1], v2, v13, s[0:1]
	v_mad_u64_u32 v[14:15], s[0:1], s23, v15, v[14:15]
	v_or_b32_e32 v15, 0x1a0, v20
	v_lshlrev_b64 v[12:13], 2, v[29:30]
	v_mad_u64_u32 v[29:30], s[0:1], s22, v15, 0
	v_add_co_u32_e64 v37, s[0:1], v1, v12
	v_mov_b32_e32 v34, v14
	v_mov_b32_e32 v14, v30
	v_addc_co_u32_e64 v38, s[0:1], v2, v13, s[0:1]
	v_mad_u64_u32 v[14:15], s[0:1], s23, v15, v[14:15]
	v_or_b32_e32 v15, 0x1d0, v20
	v_lshlrev_b64 v[12:13], 2, v[33:34]
	v_mad_u64_u32 v[33:34], s[0:1], s22, v15, 0
	v_add_co_u32_e64 v39, s[0:1], v1, v12
	v_mov_b32_e32 v30, v14
	v_mov_b32_e32 v14, v34
	v_addc_co_u32_e64 v40, s[0:1], v2, v13, s[0:1]
	v_mad_u64_u32 v[14:15], s[0:1], s23, v15, v[14:15]
	v_lshlrev_b64 v[12:13], 2, v[29:30]
	s_waitcnt vmcnt(23)
	v_lshrrev_b32_e32 v49, 16, v24
	v_add_co_u32_e64 v41, s[0:1], v1, v12
	v_mov_b32_e32 v34, v14
	v_addc_co_u32_e64 v42, s[0:1], v2, v13, s[0:1]
	v_lshlrev_b64 v[12:13], 2, v[33:34]
	s_waitcnt vmcnt(22)
	v_lshrrev_b32_e32 v45, 16, v28
	v_add_co_u32_e64 v1, s[0:1], v1, v12
	v_addc_co_u32_e64 v2, s[0:1], v2, v13, s[0:1]
	global_load_dword v12, v[31:32], off
	global_load_dword v62, v[35:36], off
	;; [unrolled: 1-line block ×6, first 2 shown]
	s_waitcnt vmcnt(27)
	v_lshrrev_b32_e32 v51, 16, v0
	s_waitcnt vmcnt(26)
	v_lshrrev_b32_e32 v48, 16, v65
	;; [unrolled: 2-line block ×28, first 2 shown]
.LBB0_13:
	s_or_b64 exec, exec, s[4:5]
	v_sub_f16_e32 v1, v0, v3
	v_sub_f16_e32 v2, v8, v4
	v_add_f16_e32 v74, v1, v2
	v_add_f16_e32 v1, v0, v8
	s_mov_b32 s14, 0xbb9c
	v_sub_f16_e32 v72, v53, v55
	s_movk_i32 s7, 0x3b9c
	v_fma_f16 v1, v1, -0.5, v24
	v_sub_f16_e32 v71, v51, v57
	s_mov_b32 s9, 0xb8b4
	s_movk_i32 s6, 0x38b4
	v_fma_f16 v2, v72, s7, v1
	v_sub_f16_e32 v73, v3, v0
	v_sub_f16_e32 v75, v4, v8
	v_fma_f16 v1, v72, s14, v1
	s_movk_i32 s8, 0x34f2
	v_fma_f16 v2, v71, s9, v2
	v_add_f16_e32 v73, v73, v75
	v_fma_f16 v1, v71, s6, v1
	v_fma_f16 v75, v73, s8, v2
	;; [unrolled: 1-line block ×3, first 2 shown]
	v_sub_f16_e32 v1, v65, v66
	v_sub_f16_e32 v2, v70, v69
	v_add_f16_e32 v80, v1, v2
	v_add_f16_e32 v1, v65, v70
	v_sub_f16_e32 v79, v52, v54
	v_fma_f16 v1, v1, -0.5, v28
	v_sub_f16_e32 v2, v66, v65
	v_sub_f16_e32 v73, v69, v70
	;; [unrolled: 1-line block ×3, first 2 shown]
	v_add_f16_e32 v73, v2, v73
	v_fma_f16 v2, v79, s7, v1
	v_fma_f16 v1, v79, s14, v1
	;; [unrolled: 1-line block ×6, first 2 shown]
	v_add_f16_e32 v73, v66, v69
	v_fma_f16 v81, v73, -0.5, v28
	v_add_f16_e32 v28, v28, v65
	v_add_f16_e32 v28, v28, v66
	;; [unrolled: 1-line block ×4, first 2 shown]
	v_sub_f16_e32 v70, v65, v70
	v_sub_f16_e32 v28, v48, v52
	;; [unrolled: 1-line block ×3, first 2 shown]
	v_add_f16_e32 v83, v28, v65
	v_sub_f16_e32 v28, v52, v48
	v_sub_f16_e32 v65, v54, v56
	v_add_f16_e32 v28, v28, v65
	v_add_f16_e32 v65, v48, v56
	v_sub_f16_e32 v69, v66, v69
	v_fma_f16 v66, v65, -0.5, v45
	v_fma_f16 v65, v69, s14, v66
	v_fma_f16 v65, v70, s6, v65
	;; [unrolled: 1-line block ×6, first 2 shown]
	v_mul_f16_e32 v28, 0xbb9c, v65
	v_fma_f16 v84, v2, s8, v28
	s_mov_b32 s0, 0xb4f2
	v_mul_f16_e32 v28, 0xbb9c, v66
	v_fma_f16 v85, v1, s0, v28
	v_add_f16_e32 v28, v75, v84
	v_add_f16_e32 v73, v76, v85
	v_pack_b32_f16 v86, v28, v73
	v_add_f16_e32 v28, v3, v4
	v_fma_f16 v87, v28, -0.5, v24
	v_fma_f16 v28, v71, s14, v87
	v_fma_f16 v28, v72, s9, v28
	;; [unrolled: 1-line block ×6, first 2 shown]
	v_add_f16_e32 v28, v52, v54
	v_fma_f16 v89, v28, -0.5, v45
	v_fma_f16 v28, v70, s7, v89
	v_add_f16_e32 v24, v24, v0
	v_fma_f16 v28, v69, s6, v28
	v_add_f16_e32 v24, v24, v3
	;; [unrolled: 2-line block ×3, first 2 shown]
	s_movk_i32 s1, 0x3a79
	v_mul_f16_e32 v28, 0xb8b4, v78
	v_add_f16_e32 v24, v24, v8
	v_fma_f16 v90, v73, s1, v28
	v_add_f16_e32 v28, v24, v82
	v_add_f16_e32 v91, v88, v90
	v_mul_u32_u24_e32 v7, 0x1e0, v7
	v_pack_b32_f16 v91, v28, v91
	v_lshlrev_b32_e32 v28, 1, v7
	v_mul_u32_u24_e32 v7, 10, v20
	v_add_u32_e32 v93, 0, v28
	v_fma_f16 v71, v71, s7, v87
	v_fma_f16 v70, v70, s14, v89
	v_lshl_add_u32 v7, v7, 1, v93
	v_fma_f16 v71, v72, s6, v71
	v_fma_f16 v72, v77, s7, v81
	;; [unrolled: 1-line block ×3, first 2 shown]
	ds_write2_b32 v7, v91, v86 offset1:1
	v_fma_f16 v72, v79, s6, v72
	v_fma_f16 v86, v83, s8, v69
	;; [unrolled: 1-line block ×3, first 2 shown]
	v_mul_f16_e32 v72, 0xb8b4, v86
	s_mov_b32 s4, 0xba79
	v_fma_f16 v71, v74, s8, v71
	v_fma_f16 v72, v81, s4, v72
	v_sub_f16_e32 v24, v24, v82
	v_sub_f16_e32 v69, v88, v90
	;; [unrolled: 1-line block ×3, first 2 shown]
	v_add_f16_e32 v75, v71, v72
	v_pack_b32_f16 v69, v69, v70
	v_pack_b32_f16 v24, v75, v24
	ds_write2_b32 v7, v24, v69 offset0:2 offset1:3
	v_add_f16_e32 v24, v5, v11
	v_sub_f16_e32 v74, v76, v85
	v_sub_f16_e32 v71, v71, v72
	;; [unrolled: 1-line block ×5, first 2 shown]
	v_fma_f16 v24, v24, -0.5, v26
	v_add_f16_e32 v72, v72, v76
	v_sub_f16_e32 v76, v6, v5
	v_sub_f16_e32 v77, v10, v11
	v_fma_f16 v69, v70, s7, v24
	v_fma_f16 v24, v70, s14, v24
	v_sub_f16_e32 v75, v41, v50
	v_add_f16_e32 v76, v76, v77
	v_fma_f16 v69, v75, s9, v69
	v_fma_f16 v24, v75, s6, v24
	;; [unrolled: 1-line block ×4, first 2 shown]
	v_sub_f16_e32 v76, v58, v59
	v_sub_f16_e32 v77, v68, v67
	v_add_f16_e32 v76, v76, v77
	v_sub_f16_e32 v77, v59, v58
	v_sub_f16_e32 v79, v67, v68
	v_add_f16_e32 v77, v77, v79
	v_add_f16_e32 v79, v58, v68
	v_fma_f16 v79, v79, -0.5, v27
	v_sub_f16_e32 v80, v42, v44
	v_fma_f16 v82, v80, s7, v79
	v_fma_f16 v79, v80, s14, v79
	v_sub_f16_e32 v83, v38, v47
	v_fma_f16 v82, v83, s9, v82
	v_fma_f16 v79, v83, s6, v79
	;; [unrolled: 1-line block ×4, first 2 shown]
	v_add_f16_e32 v77, v59, v67
	v_fma_f16 v77, v77, -0.5, v27
	v_add_f16_e32 v27, v27, v58
	v_add_f16_e32 v27, v27, v59
	;; [unrolled: 1-line block ×4, first 2 shown]
	v_sub_f16_e32 v58, v58, v68
	v_sub_f16_e32 v59, v59, v67
	;; [unrolled: 1-line block ×4, first 2 shown]
	v_add_f16_e32 v67, v67, v68
	v_sub_f16_e32 v68, v42, v38
	v_sub_f16_e32 v79, v44, v47
	v_add_f16_e32 v68, v68, v79
	v_add_f16_e32 v79, v38, v47
	v_fma_f16 v79, v79, -0.5, v35
	v_fma_f16 v82, v59, s14, v79
	v_fma_f16 v79, v59, s7, v79
	;; [unrolled: 1-line block ×6, first 2 shown]
	v_pack_b32_f16 v68, v74, v71
	v_fma_f16 v84, v83, s14, v77
	ds_write_b32 v7, v68 offset:16
	v_mul_f16_e32 v68, 0xbb9c, v101
	v_mul_f16_e32 v71, 0xbb9c, v100
	v_fma_f16 v84, v80, s9, v84
	v_fma_f16 v68, v95, s8, v68
	;; [unrolled: 1-line block ×4, first 2 shown]
	v_add_f16_e32 v84, v42, v44
	v_add_f16_e32 v74, v69, v68
	;; [unrolled: 1-line block ×3, first 2 shown]
	v_fma_f16 v84, v84, -0.5, v35
	v_pack_b32_f16 v74, v74, v79
	v_add_f16_e32 v79, v6, v10
	v_fma_f16 v85, v58, s7, v84
	v_fma_f16 v79, v79, -0.5, v26
	v_fma_f16 v85, v59, s6, v85
	v_add_f16_e32 v26, v26, v5
	v_fma_f16 v82, v75, s14, v79
	v_fma_f16 v103, v67, s8, v85
	v_add_f16_e32 v26, v26, v6
	v_fma_f16 v82, v70, s9, v82
	v_add_f16_e32 v26, v26, v10
	v_mul_f16_e32 v85, 0xb8b4, v103
	v_fma_f16 v82, v72, s8, v82
	v_add_f16_e32 v26, v26, v11
	v_fma_f16 v85, v102, s1, v85
	v_add_f16_e32 v87, v26, v27
	v_add_f16_e32 v88, v82, v85
	v_pack_b32_f16 v87, v87, v88
	v_mul_i32_i24_e32 v88, 10, v22
	v_lshl_add_u32 v92, v88, 1, v93
	ds_write2_b32 v92, v87, v74 offset1:1
	v_fma_f16 v74, v75, s7, v79
	v_fma_f16 v70, v70, s6, v74
	;; [unrolled: 1-line block ×9, first 2 shown]
	v_mul_f16_e32 v59, 0xb8b4, v105
	v_fma_f16 v59, v104, s4, v59
	v_sub_f16_e32 v26, v26, v27
	v_sub_f16_e32 v27, v82, v85
	;; [unrolled: 1-line block ×3, first 2 shown]
	v_add_f16_e32 v67, v70, v59
	v_pack_b32_f16 v27, v27, v58
	v_pack_b32_f16 v26, v67, v26
	ds_write2_b32 v92, v26, v27 offset0:2 offset1:3
	v_sub_f16_e32 v26, v9, v12
	v_sub_f16_e32 v27, v29, v13
	v_add_f16_e32 v26, v26, v27
	v_sub_f16_e32 v27, v12, v9
	v_sub_f16_e32 v58, v13, v29
	v_add_f16_e32 v27, v27, v58
	v_add_f16_e32 v58, v9, v29
	v_fma_f16 v58, v58, -0.5, v25
	v_sub_f16_e32 v67, v33, v36
	v_fma_f16 v68, v67, s7, v58
	v_fma_f16 v58, v67, s14, v58
	v_sub_f16_e32 v69, v31, v40
	v_fma_f16 v68, v69, s9, v68
	v_fma_f16 v58, v69, s6, v58
	;; [unrolled: 3-line block ×3, first 2 shown]
	v_sub_f16_e32 v58, v61, v62
	v_sub_f16_e32 v68, v64, v63
	;; [unrolled: 1-line block ×3, first 2 shown]
	v_add_f16_e32 v58, v58, v68
	v_sub_f16_e32 v68, v62, v61
	v_sub_f16_e32 v71, v63, v64
	v_add_f16_e32 v68, v68, v71
	v_add_f16_e32 v71, v61, v64
	v_fma_f16 v71, v71, -0.5, v60
	v_sub_f16_e32 v72, v32, v34
	v_fma_f16 v74, v72, s7, v71
	v_fma_f16 v71, v72, s14, v71
	v_sub_f16_e32 v75, v15, v37
	v_fma_f16 v74, v75, s9, v74
	v_fma_f16 v71, v75, s6, v71
	;; [unrolled: 1-line block ×4, first 2 shown]
	v_add_f16_e32 v68, v62, v63
	v_fma_f16 v68, v68, -0.5, v60
	v_add_f16_e32 v60, v60, v61
	v_add_f16_e32 v60, v60, v62
	;; [unrolled: 1-line block ×4, first 2 shown]
	v_sub_f16_e32 v61, v61, v64
	v_sub_f16_e32 v62, v62, v63
	;; [unrolled: 1-line block ×4, first 2 shown]
	v_add_f16_e32 v63, v63, v64
	v_sub_f16_e32 v64, v32, v15
	v_sub_f16_e32 v71, v34, v37
	v_add_f16_e32 v64, v64, v71
	v_add_f16_e32 v71, v15, v37
	v_fma_f16 v71, v71, -0.5, v14
	v_fma_f16 v74, v62, s14, v71
	v_fma_f16 v71, v62, s7, v71
	v_fma_f16 v74, v61, s6, v74
	v_fma_f16 v71, v61, s9, v71
	v_fma_f16 v109, v64, s8, v74
	v_fma_f16 v108, v64, s8, v71
	v_pack_b32_f16 v24, v24, v59
	v_fma_f16 v76, v75, s14, v68
	ds_write_b32 v92, v24 offset:16
	v_mul_f16_e32 v24, 0xbb9c, v109
	v_mul_f16_e32 v59, 0xbb9c, v108
	v_fma_f16 v76, v72, s9, v76
	v_fma_f16 v24, v107, s8, v24
	;; [unrolled: 1-line block ×4, first 2 shown]
	v_add_f16_e32 v76, v32, v34
	v_add_f16_e32 v64, v70, v24
	;; [unrolled: 1-line block ×3, first 2 shown]
	v_fma_f16 v76, v76, -0.5, v14
	v_pack_b32_f16 v64, v64, v71
	v_add_f16_e32 v71, v12, v13
	v_fma_f16 v77, v61, s7, v76
	v_fma_f16 v71, v71, -0.5, v25
	v_fma_f16 v77, v62, s6, v77
	v_add_f16_e32 v25, v25, v9
	v_fma_f16 v74, v69, s14, v71
	v_fma_f16 v112, v63, s8, v77
	v_add_f16_e32 v25, v25, v12
	v_fma_f16 v74, v67, s9, v74
	v_add_f16_e32 v25, v25, v13
	v_mul_f16_e32 v77, 0xb8b4, v112
	v_fma_f16 v74, v26, s8, v74
	v_add_f16_e32 v25, v25, v29
	v_fma_f16 v77, v111, s1, v77
	v_add_f16_e32 v79, v25, v60
	v_add_f16_e32 v80, v74, v77
	v_pack_b32_f16 v79, v79, v80
	v_mul_i32_i24_e32 v80, 10, v23
	v_lshl_add_u32 v110, v80, 1, v93
	ds_write2_b32 v110, v79, v64 offset1:1
	v_fma_f16 v64, v69, s7, v71
	v_fma_f16 v64, v67, s6, v64
	;; [unrolled: 1-line block ×9, first 2 shown]
	v_sub_f16_e32 v67, v70, v24
	v_mul_f16_e32 v24, 0xb8b4, v114
	v_fma_f16 v24, v113, s4, v24
	v_sub_f16_e32 v69, v25, v60
	v_sub_f16_e32 v68, v74, v77
	v_add_f16_e32 v60, v26, v24
	v_pack_b32_f16 v25, v68, v67
	v_pack_b32_f16 v58, v60, v69
	ds_write2_b32 v110, v58, v25 offset0:2 offset1:3
	v_sub_f16_e32 v58, v27, v59
	v_sub_f16_e32 v70, v26, v24
	v_pack_b32_f16 v24, v58, v70
	ds_write_b32 v110, v24 offset:16
	v_lshlrev_b32_e32 v24, 1, v20
	v_add_u32_e32 v25, v93, v24
	s_load_dwordx2 s[4:5], s[2:3], 0x0
	s_waitcnt lgkmcnt(0)
	; wave barrier
	s_waitcnt lgkmcnt(0)
	v_add3_u32 v24, 0, v24, v28
	v_lshl_add_u32 v26, v22, 1, v93
	v_lshl_add_u32 v27, v23, 1, v93
	ds_read_u16 v72, v25
	ds_read_u16 v93, v24 offset:120
	ds_read_u16 v87, v24 offset:152
	ds_read_u16 v85, v24 offset:392
	ds_read_u16 v91, v24 offset:720
	ds_read_u16 v82, v24 offset:752
	ds_read_u16 v96, v24 offset:360
	ds_read_u16 v79, v24 offset:304
	ds_read_u16 v88, v24 offset:272
	ds_read_u16 v97, v24 offset:240
	ds_read_u16 v83, v24 offset:184
	ds_read_u16 v74, v24 offset:664
	ds_read_u16 v89, v24 offset:632
	ds_read_u16 v98, v24 offset:600
	ds_read_u16 v61, v24 offset:544
	ds_read_u16 v62, v24 offset:512
	ds_read_u16 v63, v24 offset:480
	ds_read_u16 v84, v24 offset:424
	ds_read_u16 v64, v27
	ds_read_u16 v71, v26
	ds_read_u16 v76, v24 offset:904
	ds_read_u16 v90, v24 offset:872
	;; [unrolled: 1-line block ×4, first 2 shown]
	v_cmp_gt_u32_e64 s[0:1], 12, v20
	v_lshlrev_b32_e32 v59, 1, v21
                                        ; implicit-def: $vgpr77
                                        ; implicit-def: $vgpr75
	s_and_saveexec_b64 s[2:3], s[0:1]
	s_cbranch_execz .LBB0_15
; %bb.14:
	v_add3_u32 v60, 0, v59, v28
	ds_read_u16 v69, v24 offset:216
	ds_read_u16 v68, v24 offset:336
	;; [unrolled: 1-line block ×6, first 2 shown]
	ds_read_u16 v60, v60
	ds_read_u16 v75, v24 offset:936
.LBB0_15:
	s_or_b64 exec, exec, s[2:3]
	v_add_f16_e32 v116, v53, v55
	v_fma_f16 v116, v116, -0.5, v49
	v_sub_f16_e32 v0, v0, v8
	v_fma_f16 v8, v0, s7, v116
	v_sub_f16_e32 v3, v3, v4
	v_fma_f16 v4, v3, s6, v8
	v_sub_f16_e32 v8, v51, v53
	v_sub_f16_e32 v117, v57, v55
	v_fma_f16 v116, v0, s14, v116
	v_add_f16_e32 v8, v8, v117
	v_fma_f16 v116, v3, s9, v116
	v_fma_f16 v4, v8, s8, v4
	;; [unrolled: 1-line block ×3, first 2 shown]
	v_add_f16_e32 v116, v51, v57
	v_add_f16_e32 v115, v49, v51
	v_fma_f16 v49, v116, -0.5, v49
	v_fma_f16 v116, v3, s14, v49
	v_fma_f16 v3, v3, s7, v49
	;; [unrolled: 1-line block ×4, first 2 shown]
	v_add_f16_e32 v3, v45, v48
	v_mul_f16_e32 v48, 0x3a79, v78
	v_fma_f16 v48, v73, s6, v48
	v_add_f16_e32 v115, v115, v53
	v_sub_f16_e32 v51, v53, v51
	v_sub_f16_e32 v53, v55, v57
	v_add_f16_e32 v49, v4, v48
	v_sub_f16_e32 v4, v4, v48
	v_add_f16_e32 v48, v43, v46
	v_add_f16_e32 v51, v51, v53
	v_mul_f16_e32 v2, 0x3b9c, v2
	v_fma_f16 v48, v48, -0.5, v39
	v_sub_f16_e32 v5, v5, v11
	v_fma_f16 v53, v51, s8, v116
	v_fma_f16 v2, v65, s8, v2
	;; [unrolled: 1-line block ×3, first 2 shown]
	v_sub_f16_e32 v6, v6, v10
	v_fma_f16 v0, v51, s8, v0
	v_add_f16_e32 v3, v3, v52
	v_add_f16_e32 v51, v53, v2
	v_sub_f16_e32 v2, v53, v2
	v_fma_f16 v10, v6, s6, v11
	v_sub_f16_e32 v11, v41, v43
	v_sub_f16_e32 v53, v50, v46
	v_fma_f16 v48, v5, s14, v48
	v_add_f16_e32 v3, v3, v54
	v_mul_f16_e32 v52, 0x34f2, v66
	v_mul_f16_e32 v54, 0x3a79, v86
	v_add_f16_e32 v11, v11, v53
	v_fma_f16 v48, v6, s9, v48
	v_fma_f16 v1, v1, s7, -v52
	v_fma_f16 v54, v81, s6, -v54
	v_fma_f16 v10, v11, s8, v10
	v_fma_f16 v11, v11, s8, v48
	v_add_f16_e32 v48, v41, v50
	v_add_f16_e32 v115, v115, v55
	;; [unrolled: 1-line block ×4, first 2 shown]
	v_sub_f16_e32 v0, v0, v1
	v_sub_f16_e32 v1, v8, v54
	v_add_f16_e32 v8, v39, v41
	v_fma_f16 v39, v48, -0.5, v39
	v_fma_f16 v48, v6, s14, v39
	v_fma_f16 v6, v6, s7, v39
	;; [unrolled: 1-line block ×4, first 2 shown]
	v_add_f16_e32 v6, v35, v38
	v_add_f16_e32 v8, v8, v43
	v_sub_f16_e32 v41, v43, v41
	v_sub_f16_e32 v43, v46, v50
	v_add_f16_e32 v6, v6, v42
	v_add_f16_e32 v8, v8, v46
	;; [unrolled: 1-line block ×4, first 2 shown]
	v_mul_f16_e32 v35, 0x3a79, v103
	v_mul_f16_e32 v38, 0x3b9c, v95
	v_add_f16_e32 v8, v8, v50
	v_fma_f16 v43, v41, s8, v48
	v_add_f16_e32 v6, v6, v47
	v_fma_f16 v35, v102, s6, v35
	v_fma_f16 v38, v101, s8, v38
	;; [unrolled: 1-line block ×3, first 2 shown]
	v_add_f16_e32 v41, v8, v6
	v_add_f16_e32 v42, v10, v35
	;; [unrolled: 1-line block ×3, first 2 shown]
	v_sub_f16_e32 v6, v8, v6
	v_sub_f16_e32 v8, v10, v35
	;; [unrolled: 1-line block ×3, first 2 shown]
	v_add_f16_e32 v38, v33, v36
	v_mul_f16_e32 v39, 0x34f2, v100
	v_fma_f16 v38, v38, -0.5, v30
	v_sub_f16_e32 v9, v9, v29
	v_fma_f16 v39, v94, s7, -v39
	v_fma_f16 v29, v9, s7, v38
	v_sub_f16_e32 v12, v12, v13
	v_add_f16_e32 v46, v5, v39
	v_sub_f16_e32 v5, v5, v39
	v_fma_f16 v13, v12, s6, v29
	v_sub_f16_e32 v29, v31, v33
	v_sub_f16_e32 v39, v40, v36
	v_fma_f16 v38, v9, s14, v38
	v_add_f16_e32 v29, v29, v39
	v_fma_f16 v38, v12, s9, v38
	v_fma_f16 v13, v29, s8, v13
	;; [unrolled: 1-line block ×3, first 2 shown]
	v_add_f16_e32 v38, v31, v40
	v_add_f16_e32 v35, v30, v31
	v_fma_f16 v30, v38, -0.5, v30
	v_fma_f16 v38, v12, s14, v30
	v_fma_f16 v12, v12, s7, v30
	;; [unrolled: 1-line block ×4, first 2 shown]
	v_add_f16_e32 v12, v14, v15
	v_add_f16_e32 v35, v35, v33
	v_sub_f16_e32 v31, v33, v31
	v_sub_f16_e32 v33, v36, v40
	v_add_f16_e32 v12, v12, v32
	v_add_f16_e32 v115, v115, v57
	;; [unrolled: 1-line block ×3, first 2 shown]
	v_mul_f16_e32 v47, 0x3a79, v105
	v_add_f16_e32 v35, v35, v36
	v_add_f16_e32 v31, v31, v33
	;; [unrolled: 1-line block ×3, first 2 shown]
	v_mul_f16_e32 v34, 0x34f2, v108
	v_add_f16_e32 v45, v115, v3
	v_sub_f16_e32 v3, v115, v3
	v_fma_f16 v47, v104, s6, -v47
	v_add_f16_e32 v35, v35, v40
	v_fma_f16 v9, v31, s8, v9
	v_add_f16_e32 v12, v12, v37
	v_fma_f16 v34, v106, s7, -v34
	v_pack_b32_f16 v0, v0, v1
	v_add_f16_e32 v48, v11, v47
	v_fma_f16 v33, v31, s8, v38
	v_add_f16_e32 v14, v35, v12
	v_mul_f16_e32 v15, 0x3a79, v112
	v_mul_f16_e32 v31, 0x3b9c, v107
	v_add_f16_e32 v43, v9, v34
	v_sub_f16_e32 v38, v35, v12
	v_sub_f16_e32 v40, v9, v34
	s_waitcnt lgkmcnt(0)
	; wave barrier
	s_waitcnt lgkmcnt(0)
	v_pack_b32_f16 v9, v51, v52
	v_pack_b32_f16 v12, v45, v49
	;; [unrolled: 1-line block ×4, first 2 shown]
	ds_write_b32 v7, v0 offset:16
	v_pack_b32_f16 v0, v44, v46
	v_pack_b32_f16 v1, v41, v42
	v_sub_f16_e32 v11, v11, v47
	v_fma_f16 v15, v111, s6, v15
	v_fma_f16 v31, v109, s8, v31
	v_mul_f16_e32 v36, 0x3a79, v114
	ds_write2_b32 v7, v12, v9 offset1:1
	ds_write2_b32 v7, v3, v2 offset0:2 offset1:3
	ds_write2_b32 v92, v1, v0 offset1:1
	v_pack_b32_f16 v0, v8, v10
	v_pack_b32_f16 v1, v48, v6
	v_add_f16_e32 v30, v13, v15
	v_add_f16_e32 v32, v33, v31
	v_fma_f16 v36, v113, s6, -v36
	ds_write2_b32 v92, v1, v0 offset0:2 offset1:3
	v_pack_b32_f16 v0, v5, v11
	v_add_f16_e32 v39, v29, v36
	v_sub_f16_e32 v37, v13, v15
	v_sub_f16_e32 v35, v33, v31
	ds_write_b32 v92, v0 offset:16
	v_pack_b32_f16 v0, v32, v43
	v_pack_b32_f16 v1, v14, v30
	v_sub_f16_e32 v36, v29, v36
	ds_write2_b32 v110, v1, v0 offset1:1
	v_pack_b32_f16 v0, v37, v35
	v_pack_b32_f16 v1, v39, v38
	ds_write2_b32 v110, v1, v0 offset0:2 offset1:3
	v_pack_b32_f16 v0, v40, v36
	ds_write_b32 v110, v0 offset:16
	s_waitcnt lgkmcnt(0)
	; wave barrier
	s_waitcnt lgkmcnt(0)
	ds_read_u16 v30, v25
	ds_read_u16 v57, v24 offset:120
	ds_read_u16 v47, v24 offset:152
	;; [unrolled: 1-line block ×8, first 2 shown]
	ds_read_u16 v29, v27
	ds_read_u16 v66, v24 offset:360
	ds_read_u16 v45, v24 offset:304
	;; [unrolled: 1-line block ×10, first 2 shown]
	ds_read_u16 v31, v26
	ds_read_u16 v43, v24 offset:904
	ds_read_u16 v81, v24 offset:840
	ds_read_u16 v46, v24 offset:784
                                        ; implicit-def: $vgpr42
                                        ; implicit-def: $vgpr41
	s_and_saveexec_b64 s[2:3], s[0:1]
	s_cbranch_execz .LBB0_17
; %bb.16:
	v_add3_u32 v0, 0, v59, v28
	ds_read_u16 v38, v24 offset:216
	ds_read_u16 v37, v24 offset:336
	;; [unrolled: 1-line block ×6, first 2 shown]
	ds_read_u16 v39, v0
	ds_read_u16 v41, v24 offset:936
.LBB0_17:
	s_or_b64 exec, exec, s[2:3]
	v_add_u32_e32 v0, -10, v20
	v_cmp_gt_u32_e64 s[2:3], 10, v20
	v_cndmask_b32_e64 v86, v0, v20, s[2:3]
	v_mul_i32_i24_e32 v0, 7, v86
	v_mov_b32_e32 v1, 0
	v_lshlrev_b64 v[0:1], 2, v[0:1]
	v_mov_b32_e32 v2, s13
	v_add_co_u32_e64 v0, s[2:3], s12, v0
	v_addc_co_u32_e64 v1, s[2:3], v2, v1, s[2:3]
	s_movk_i32 s2, 0xcd
	global_load_dwordx4 v[4:7], v[0:1], off
	global_load_dwordx3 v[100:102], v[0:1], off offset:16
	v_mul_lo_u16_sdwa v1, v22, s2 dst_sel:DWORD dst_unused:UNUSED_PAD src0_sel:BYTE_0 src1_sel:DWORD
	v_lshrrev_b16_e32 v92, 11, v1
	v_mul_lo_u16_e32 v1, 10, v92
	v_sub_u16_e32 v94, v22, v1
	v_mov_b32_e32 v0, 2
	v_mul_lo_u16_e32 v1, 7, v94
	v_lshlrev_b32_sdwa v0, v0, v1 dst_sel:DWORD dst_unused:UNUSED_PAD src0_sel:DWORD src1_sel:BYTE_0
	v_mul_lo_u16_sdwa v1, v23, s2 dst_sel:DWORD dst_unused:UNUSED_PAD src0_sel:BYTE_0 src1_sel:DWORD
	v_lshrrev_b16_e32 v95, 11, v1
	v_mul_lo_u16_e32 v1, 10, v95
	global_load_dwordx4 v[8:11], v0, s[12:13]
	global_load_dwordx3 v[103:105], v0, s[12:13] offset:16
	v_mov_b32_e32 v0, 7
	v_sub_u16_e32 v112, v23, v1
	v_mul_u32_u24_sdwa v1, v112, v0 dst_sel:DWORD dst_unused:UNUSED_PAD src0_sel:BYTE_0 src1_sel:DWORD
	v_lshlrev_b32_e32 v1, 2, v1
	global_load_dwordx4 v[12:15], v1, s[12:13]
	global_load_dwordx3 v[106:108], v1, s[12:13] offset:16
	v_mul_lo_u16_sdwa v1, v21, s2 dst_sel:DWORD dst_unused:UNUSED_PAD src0_sel:BYTE_0 src1_sel:DWORD
	v_lshrrev_b16_e32 v52, 11, v1
	v_mul_lo_u16_e32 v1, 10, v52
	v_sub_u16_e32 v53, v21, v1
	v_mul_u32_u24_sdwa v0, v53, v0 dst_sel:DWORD dst_unused:UNUSED_PAD src0_sel:BYTE_0 src1_sel:DWORD
	v_lshlrev_b32_e32 v113, 2, v0
	global_load_dwordx4 v[0:3], v113, s[12:13]
	global_load_dwordx3 v[109:111], v113, s[12:13] offset:16
	s_mov_b32 s3, 0xb9a8
	s_movk_i32 s2, 0x39a8
	s_waitcnt lgkmcnt(0)
	; wave barrier
	s_waitcnt vmcnt(7) lgkmcnt(0)
	v_mul_f16_sdwa v113, v57, v4 dst_sel:DWORD dst_unused:UNUSED_PAD src0_sel:DWORD src1_sel:WORD_1
	v_mul_f16_sdwa v114, v93, v4 dst_sel:DWORD dst_unused:UNUSED_PAD src0_sel:DWORD src1_sel:WORD_1
	;; [unrolled: 1-line block ×6, first 2 shown]
	v_fma_f16 v93, v93, v4, v113
	v_fma_f16 v57, v57, v4, -v114
	v_fma_f16 v4, v73, v5, -v116
	v_fma_f16 v73, v96, v6, v117
	v_fma_f16 v66, v66, v6, -v118
	s_waitcnt vmcnt(5)
	v_mul_f16_sdwa v6, v87, v8 dst_sel:DWORD dst_unused:UNUSED_PAD src0_sel:DWORD src1_sel:WORD_1
	v_mul_f16_sdwa v119, v34, v7 dst_sel:DWORD dst_unused:UNUSED_PAD src0_sel:DWORD src1_sel:WORD_1
	;; [unrolled: 1-line block ×4, first 2 shown]
	v_fma_f16 v97, v97, v5, v115
	v_mul_f16_sdwa v5, v47, v8 dst_sel:DWORD dst_unused:UNUSED_PAD src0_sel:DWORD src1_sel:WORD_1
	v_fma_f16 v47, v47, v8, -v6
	s_waitcnt vmcnt(4)
	v_mul_f16_sdwa v6, v90, v105 dst_sel:DWORD dst_unused:UNUSED_PAD src0_sel:DWORD src1_sel:WORD_1
	v_mul_f16_sdwa v122, v65, v101 dst_sel:DWORD dst_unused:UNUSED_PAD src0_sel:DWORD src1_sel:WORD_1
	;; [unrolled: 1-line block ×3, first 2 shown]
	v_fma_f16 v96, v63, v7, v119
	v_fma_f16 v98, v98, v100, v120
	v_fma_f16 v78, v78, v100, -v121
	v_mul_f16_sdwa v100, v55, v9 dst_sel:DWORD dst_unused:UNUSED_PAD src0_sel:DWORD src1_sel:WORD_1
	v_mul_f16_sdwa v119, v48, v105 dst_sel:DWORD dst_unused:UNUSED_PAD src0_sel:DWORD src1_sel:WORD_1
	v_fma_f16 v48, v48, v105, -v6
	s_waitcnt vmcnt(3)
	v_mul_f16_sdwa v6, v50, v12 dst_sel:DWORD dst_unused:UNUSED_PAD src0_sel:DWORD src1_sel:WORD_1
	v_fma_f16 v91, v91, v101, v122
	v_fma_f16 v65, v65, v101, -v123
	v_mul_f16_sdwa v101, v88, v9 dst_sel:DWORD dst_unused:UNUSED_PAD src0_sel:DWORD src1_sel:WORD_1
	v_fma_f16 v88, v88, v9, v100
	v_fma_f16 v100, v90, v105, v119
	;; [unrolled: 1-line block ×3, first 2 shown]
	v_mul_f16_sdwa v6, v83, v12 dst_sel:DWORD dst_unused:UNUSED_PAD src0_sel:DWORD src1_sel:WORD_1
	v_fma_f16 v12, v50, v12, -v6
	v_mul_f16_sdwa v6, v45, v13 dst_sel:DWORD dst_unused:UNUSED_PAD src0_sel:DWORD src1_sel:WORD_1
	v_fma_f16 v87, v87, v8, v5
	v_fma_f16 v83, v79, v13, v6
	v_mul_f16_sdwa v6, v79, v13 dst_sel:DWORD dst_unused:UNUSED_PAD src0_sel:DWORD src1_sel:WORD_1
	v_mul_f16_sdwa v8, v51, v14 dst_sel:DWORD dst_unused:UNUSED_PAD src0_sel:DWORD src1_sel:WORD_1
	v_fma_f16 v6, v45, v13, -v6
	v_fma_f16 v13, v84, v14, v8
	v_mul_f16_sdwa v8, v84, v14 dst_sel:DWORD dst_unused:UNUSED_PAD src0_sel:DWORD src1_sel:WORD_1
	v_fma_f16 v14, v51, v14, -v8
	v_mul_f16_sdwa v8, v33, v15 dst_sel:DWORD dst_unused:UNUSED_PAD src0_sel:DWORD src1_sel:WORD_1
	v_fma_f16 v51, v61, v15, v8
	s_waitcnt vmcnt(2)
	v_mul_f16_sdwa v8, v44, v106 dst_sel:DWORD dst_unused:UNUSED_PAD src0_sel:DWORD src1_sel:WORD_1
	v_fma_f16 v79, v74, v106, v8
	v_mul_f16_sdwa v8, v74, v106 dst_sel:DWORD dst_unused:UNUSED_PAD src0_sel:DWORD src1_sel:WORD_1
	v_fma_f16 v74, v44, v106, -v8
	v_mul_f16_sdwa v8, v46, v107 dst_sel:DWORD dst_unused:UNUSED_PAD src0_sel:DWORD src1_sel:WORD_1
	v_fma_f16 v84, v80, v107, v8
	v_mul_f16_sdwa v8, v80, v107 dst_sel:DWORD dst_unused:UNUSED_PAD src0_sel:DWORD src1_sel:WORD_1
	v_fma_f16 v80, v46, v107, -v8
	v_mul_f16_sdwa v8, v43, v108 dst_sel:DWORD dst_unused:UNUSED_PAD src0_sel:DWORD src1_sel:WORD_1
	v_mul_f16_sdwa v124, v81, v102 dst_sel:DWORD dst_unused:UNUSED_PAD src0_sel:DWORD src1_sel:WORD_1
	;; [unrolled: 1-line block ×3, first 2 shown]
	v_fma_f16 v5, v55, v9, -v101
	v_fma_f16 v101, v76, v108, v8
	v_mul_f16_sdwa v8, v76, v108 dst_sel:DWORD dst_unused:UNUSED_PAD src0_sel:DWORD src1_sel:WORD_1
	v_fma_f16 v99, v99, v102, v124
	v_fma_f16 v81, v81, v102, -v125
	v_mul_f16_sdwa v102, v54, v10 dst_sel:DWORD dst_unused:UNUSED_PAD src0_sel:DWORD src1_sel:WORD_1
	v_fma_f16 v76, v43, v108, -v8
	s_waitcnt vmcnt(1)
	v_mul_f16_sdwa v8, v38, v0 dst_sel:DWORD dst_unused:UNUSED_PAD src0_sel:DWORD src1_sel:WORD_1
	v_mul_f16_sdwa v115, v56, v103 dst_sel:DWORD dst_unused:UNUSED_PAD src0_sel:DWORD src1_sel:WORD_1
	v_mul_f16_sdwa v116, v89, v103 dst_sel:DWORD dst_unused:UNUSED_PAD src0_sel:DWORD src1_sel:WORD_1
	v_fma_f16 v55, v85, v10, v102
	v_fma_f16 v102, v69, v0, v8
	v_mul_f16_sdwa v8, v69, v0 dst_sel:DWORD dst_unused:UNUSED_PAD src0_sel:DWORD src1_sel:WORD_1
	v_fma_f16 v89, v89, v103, v115
	v_fma_f16 v56, v56, v103, -v116
	v_fma_f16 v103, v38, v0, -v8
	v_mul_f16_sdwa v0, v37, v1 dst_sel:DWORD dst_unused:UNUSED_PAD src0_sel:DWORD src1_sel:WORD_1
	v_fma_f16 v38, v68, v1, v0
	v_mul_f16_sdwa v0, v68, v1 dst_sel:DWORD dst_unused:UNUSED_PAD src0_sel:DWORD src1_sel:WORD_1
	v_mul_f16_sdwa v117, v49, v104 dst_sel:DWORD dst_unused:UNUSED_PAD src0_sel:DWORD src1_sel:WORD_1
	;; [unrolled: 1-line block ×3, first 2 shown]
	v_fma_f16 v0, v37, v1, -v0
	v_mul_f16_sdwa v1, v35, v2 dst_sel:DWORD dst_unused:UNUSED_PAD src0_sel:DWORD src1_sel:WORD_1
	v_fma_f16 v82, v82, v104, v117
	v_fma_f16 v49, v49, v104, -v118
	v_fma_f16 v104, v67, v2, v1
	v_mul_f16_sdwa v1, v67, v2 dst_sel:DWORD dst_unused:UNUSED_PAD src0_sel:DWORD src1_sel:WORD_1
	v_fma_f16 v67, v35, v2, -v1
	s_waitcnt vmcnt(0)
	v_mul_f16_sdwa v1, v36, v109 dst_sel:DWORD dst_unused:UNUSED_PAD src0_sel:DWORD src1_sel:WORD_1
	v_fma_f16 v105, v70, v109, v1
	v_mul_f16_sdwa v1, v70, v109 dst_sel:DWORD dst_unused:UNUSED_PAD src0_sel:DWORD src1_sel:WORD_1
	v_fma_f16 v106, v36, v109, -v1
	v_mul_f16_sdwa v1, v42, v110 dst_sel:DWORD dst_unused:UNUSED_PAD src0_sel:DWORD src1_sel:WORD_1
	v_mul_f16_sdwa v2, v77, v110 dst_sel:DWORD dst_unused:UNUSED_PAD src0_sel:DWORD src1_sel:WORD_1
	v_fma_f16 v1, v77, v110, v1
	v_fma_f16 v77, v42, v110, -v2
	v_mul_f16_sdwa v2, v41, v111 dst_sel:DWORD dst_unused:UNUSED_PAD src0_sel:DWORD src1_sel:WORD_1
	v_mul_f16_sdwa v113, v85, v10 dst_sel:DWORD dst_unused:UNUSED_PAD src0_sel:DWORD src1_sel:WORD_1
	v_fma_f16 v107, v75, v111, v2
	v_mul_f16_sdwa v2, v75, v111 dst_sel:DWORD dst_unused:UNUSED_PAD src0_sel:DWORD src1_sel:WORD_1
	v_fma_f16 v54, v54, v10, -v113
	v_fma_f16 v108, v41, v111, -v2
	v_sub_f16_e32 v10, v72, v96
	v_sub_f16_e32 v2, v97, v91
	;; [unrolled: 1-line block ×6, first 2 shown]
	v_fma_f16 v35, v72, 2.0, -v10
	v_fma_f16 v36, v97, 2.0, -v2
	;; [unrolled: 1-line block ×4, first 2 shown]
	v_sub_f16_e32 v44, v66, v81
	v_fma_f16 v45, v73, 2.0, -v43
	v_add_f16_e32 v57, v10, v8
	v_fma_f16 v46, v66, 2.0, -v44
	v_sub_f16_e32 v50, v35, v36
	v_fma_f16 v65, v10, 2.0, -v57
	v_sub_f16_e32 v10, v42, v45
	v_add_f16_e32 v44, v37, v44
	v_fma_f16 v36, v35, 2.0, -v50
	v_fma_f16 v42, v42, 2.0, -v10
	v_sub_f16_e32 v45, v41, v43
	v_fma_f16 v43, v37, 2.0, -v44
	v_mul_f16_sdwa v114, v32, v11 dst_sel:DWORD dst_unused:UNUSED_PAD src0_sel:DWORD src1_sel:WORD_1
	v_fma_f16 v41, v41, 2.0, -v45
	v_sub_f16_e32 v66, v36, v42
	v_fma_f16 v42, v43, s3, v65
	v_fma_f16 v85, v62, v11, v114
	v_sub_f16_e32 v35, v9, v46
	v_fma_f16 v81, v41, s2, v42
	v_fma_f16 v42, v44, s2, v57
	v_add_f16_e32 v93, v50, v35
	v_fma_f16 v97, v45, s2, v42
	v_sub_f16_e32 v46, v71, v85
	v_sub_f16_e32 v42, v88, v82
	v_mul_f16_e32 v37, 0x39a8, v41
	v_fma_f16 v96, v50, 2.0, -v93
	v_mul_f16_e32 v41, 0x39a8, v44
	v_fma_f16 v98, v57, 2.0, -v97
	v_fma_f16 v50, v71, 2.0, -v46
	v_sub_f16_e32 v44, v5, v49
	v_fma_f16 v49, v88, 2.0, -v42
	v_sub_f16_e32 v57, v87, v89
	v_sub_f16_e32 v56, v47, v56
	;; [unrolled: 1-line block ×3, first 2 shown]
	v_fma_f16 v78, v36, 2.0, -v66
	v_mul_f16_e32 v36, 0x39a8, v43
	v_fma_f16 v91, v65, 2.0, -v81
	v_mul_f16_e32 v43, 0x39a8, v45
	v_fma_f16 v65, v87, 2.0, -v57
	v_fma_f16 v45, v47, 2.0, -v56
	v_sub_f16_e32 v48, v54, v48
	v_fma_f16 v47, v55, 2.0, -v68
	v_sub_f16_e32 v55, v50, v49
	v_add_f16_e32 v69, v46, v44
	v_fma_f16 v54, v54, 2.0, -v48
	v_fma_f16 v49, v50, 2.0, -v55
	;; [unrolled: 1-line block ×3, first 2 shown]
	v_sub_f16_e32 v46, v65, v47
	v_sub_f16_e32 v47, v45, v54
	v_fma_f16 v54, v65, 2.0, -v46
	v_add_f16_e32 v65, v57, v48
	v_sub_f16_e32 v70, v56, v68
	v_fma_f16 v57, v57, 2.0, -v65
	v_fma_f16 v56, v56, 2.0, -v70
	v_sub_f16_e32 v82, v49, v54
	v_fma_f16 v54, v57, s3, v50
	v_fma_f16 v87, v56, s2, v54
	;; [unrolled: 1-line block ×3, first 2 shown]
	v_add_f16_e32 v89, v55, v47
	v_fma_f16 v100, v70, s2, v54
	v_sub_f16_e32 v54, v64, v51
	v_fma_f16 v99, v55, 2.0, -v89
	v_fma_f16 v55, v64, 2.0, -v54
	v_sub_f16_e32 v64, v12, v74
	v_mul_f16_e32 v48, 0x39a8, v57
	v_mul_f16_e32 v68, 0x39a8, v70
	v_sub_f16_e32 v51, v83, v84
	v_sub_f16_e32 v57, v90, v79
	v_fma_f16 v70, v12, 2.0, -v64
	v_sub_f16_e32 v12, v13, v101
	v_sub_f16_e32 v73, v14, v76
	v_fma_f16 v85, v49, 2.0, -v82
	v_mul_f16_e32 v49, 0x39a8, v56
	v_fma_f16 v88, v50, 2.0, -v87
	v_mul_f16_e32 v50, 0x39a8, v65
	v_fma_f16 v109, v69, 2.0, -v100
	v_sub_f16_e32 v69, v6, v80
	v_fma_f16 v56, v83, 2.0, -v51
	v_fma_f16 v65, v90, 2.0, -v57
	;; [unrolled: 1-line block ×4, first 2 shown]
	v_sub_f16_e32 v56, v55, v56
	v_add_f16_e32 v79, v54, v69
	v_sub_f16_e32 v71, v65, v13
	v_sub_f16_e32 v72, v70, v14
	v_add_f16_e32 v14, v57, v73
	v_fma_f16 v55, v55, 2.0, -v56
	v_fma_f16 v54, v54, 2.0, -v79
	;; [unrolled: 1-line block ×3, first 2 shown]
	v_sub_f16_e32 v12, v64, v12
	v_fma_f16 v57, v57, 2.0, -v14
	v_fma_f16 v64, v64, 2.0, -v12
	v_sub_f16_e32 v80, v55, v13
	v_fma_f16 v13, v57, s3, v54
	v_fma_f16 v84, v64, s2, v13
	v_mul_f16_e32 v74, 0x39a8, v64
	v_fma_f16 v90, v54, 2.0, -v84
	v_sub_f16_e32 v54, v102, v105
	v_sub_f16_e32 v64, v67, v108
	v_add_f16_e32 v101, v56, v72
	v_add_f16_e32 v65, v54, v64
	v_mul_f16_e32 v73, 0x39a8, v57
	v_fma_f16 v110, v56, 2.0, -v101
	v_mul_f16_e32 v75, 0x39a8, v14
	v_fma_f16 v13, v14, s2, v79
	v_sub_f16_e32 v14, v0, v77
	v_sub_f16_e32 v56, v103, v106
	v_fma_f16 v77, v102, 2.0, -v54
	v_sub_f16_e32 v57, v104, v107
	v_fma_f16 v54, v54, 2.0, -v65
	v_fma_f16 v83, v55, 2.0, -v80
	v_mul_f16_e32 v76, 0x39a8, v12
	v_fma_f16 v111, v12, s2, v13
	v_fma_f16 v12, v104, 2.0, -v57
	v_fma_f16 v55, v67, 2.0, -v64
	v_sub_f16_e32 v67, v56, v57
	v_mul_f16_e32 v57, 0x39a8, v54
	v_mul_f16_e32 v54, 0x39a8, v65
	v_mov_b32_e32 v65, 0x50
	v_cmp_lt_u32_e64 s[2:3], 9, v20
	v_cndmask_b32_e64 v65, 0, v65, s[2:3]
	v_or_b32_e32 v65, v65, v86
	v_lshlrev_b32_e32 v65, 1, v65
	v_add3_u32 v65, 0, v65, v28
	v_fma_f16 v13, v103, 2.0, -v56
	v_fma_f16 v56, v56, 2.0, -v67
	ds_write_b16 v65, v78
	ds_write_b16 v65, v91 offset:20
	ds_write_b16 v65, v96 offset:40
	;; [unrolled: 1-line block ×7, first 2 shown]
	v_mul_lo_u16_e32 v66, 0x50, v92
	v_mul_f16_e32 v64, 0x39a8, v56
	v_mul_f16_e32 v56, 0x39a8, v67
	v_or_b32_e32 v66, v66, v94
	v_mov_b32_e32 v67, 1
	v_lshlrev_b32_sdwa v66, v67, v66 dst_sel:DWORD dst_unused:UNUSED_PAD src0_sel:DWORD src1_sel:BYTE_0
	v_mul_u32_u24_e32 v67, 0x50, v95
	v_or_b32_sdwa v67, v67, v112 dst_sel:DWORD dst_unused:UNUSED_PAD src0_sel:DWORD src1_sel:BYTE_0
	v_lshlrev_b32_e32 v67, 1, v67
	v_sub_f16_e32 v1, v38, v1
	v_sub_f16_e32 v12, v77, v12
	v_sub_f16_e32 v55, v13, v55
	v_add3_u32 v66, 0, v66, v28
	v_add3_u32 v67, 0, v67, v28
	v_fma_f16 v79, v79, 2.0, -v111
	ds_write_b16 v66, v85
	ds_write_b16 v66, v88 offset:20
	ds_write_b16 v66, v99 offset:40
	;; [unrolled: 1-line block ×7, first 2 shown]
	ds_write_b16 v67, v83
	ds_write_b16 v67, v90 offset:20
	ds_write_b16 v67, v110 offset:40
	;; [unrolled: 1-line block ×7, first 2 shown]
	s_and_saveexec_b64 s[2:3], s[0:1]
	s_cbranch_execz .LBB0_19
; %bb.18:
	v_mul_f16_sdwa v78, v40, v3 dst_sel:DWORD dst_unused:UNUSED_PAD src0_sel:DWORD src1_sel:WORD_1
	v_fma_f16 v78, v58, v3, v78
	v_sub_f16_e32 v78, v60, v78
	v_add_f16_e32 v79, v78, v14
	v_fma_f16 v60, v60, 2.0, -v78
	v_fma_f16 v38, v38, 2.0, -v1
	v_add_f16_e32 v80, v79, v54
	v_sub_f16_e32 v38, v60, v38
	v_mul_u32_u24_e32 v83, 0x50, v52
	v_add_f16_e32 v80, v56, v80
	v_fma_f16 v78, v78, 2.0, -v79
	v_fma_f16 v60, v60, 2.0, -v38
	;; [unrolled: 1-line block ×3, first 2 shown]
	v_or_b32_sdwa v83, v83, v53 dst_sel:DWORD dst_unused:UNUSED_PAD src0_sel:DWORD src1_sel:BYTE_0
	v_fma_f16 v81, v79, 2.0, -v80
	v_sub_f16_e32 v79, v78, v57
	v_sub_f16_e32 v77, v60, v77
	v_lshlrev_b32_e32 v83, 1, v83
	v_add_f16_e32 v82, v38, v55
	v_add_f16_e32 v79, v64, v79
	v_fma_f16 v60, v60, 2.0, -v77
	v_add3_u32 v83, 0, v83, v28
	v_fma_f16 v78, v78, 2.0, -v79
	v_fma_f16 v38, v38, 2.0, -v82
	ds_write_b16 v83, v60
	ds_write_b16 v83, v78 offset:20
	ds_write_b16 v83, v38 offset:40
	;; [unrolled: 1-line block ×7, first 2 shown]
.LBB0_19:
	s_or_b64 exec, exec, s[2:3]
	v_mul_f16_sdwa v38, v63, v7 dst_sel:DWORD dst_unused:UNUSED_PAD src0_sel:DWORD src1_sel:WORD_1
	v_fma_f16 v7, v34, v7, -v38
	v_sub_f16_e32 v7, v30, v7
	v_fma_f16 v30, v30, 2.0, -v7
	v_fma_f16 v4, v4, 2.0, -v8
	v_sub_f16_e32 v4, v30, v4
	v_sub_f16_e32 v2, v7, v2
	;; [unrolled: 1-line block ×3, first 2 shown]
	v_mul_f16_sdwa v34, v62, v11 dst_sel:DWORD dst_unused:UNUSED_PAD src0_sel:DWORD src1_sel:WORD_1
	v_fma_f16 v8, v30, 2.0, -v4
	v_fma_f16 v78, v4, 2.0, -v77
	v_add_f16_e32 v4, v2, v43
	v_fma_f16 v11, v32, v11, -v34
	v_fma_f16 v9, v9, 2.0, -v35
	v_sub_f16_e32 v79, v4, v41
	v_fma_f16 v7, v7, 2.0, -v2
	v_sub_f16_e32 v60, v8, v9
	;; [unrolled: 2-line block ×3, first 2 shown]
	v_mul_f16_sdwa v32, v61, v15 dst_sel:DWORD dst_unused:UNUSED_PAD src0_sel:DWORD src1_sel:WORD_1
	v_fma_f16 v61, v8, 2.0, -v60
	v_sub_f16_e32 v8, v7, v37
	v_fma_f16 v4, v31, 2.0, -v2
	v_fma_f16 v5, v5, 2.0, -v44
	v_sub_f16_e32 v62, v8, v36
	v_sub_f16_e32 v5, v4, v5
	v_fma_f16 v63, v7, 2.0, -v62
	v_fma_f16 v4, v4, 2.0, -v5
	v_sub_f16_e32 v7, v2, v42
	v_fma_f16 v8, v45, 2.0, -v47
	v_fma_f16 v2, v2, 2.0, -v7
	v_sub_f16_e32 v81, v4, v8
	v_fma_f16 v82, v4, 2.0, -v81
	v_sub_f16_e32 v4, v2, v49
	v_sub_f16_e32 v83, v4, v48
	v_fma_f16 v15, v33, v15, -v32
	v_fma_f16 v84, v2, 2.0, -v83
	v_add_f16_e32 v2, v7, v68
	v_sub_f16_e32 v85, v5, v46
	v_sub_f16_e32 v68, v2, v50
	;; [unrolled: 1-line block ×3, first 2 shown]
	v_fma_f16 v86, v5, 2.0, -v85
	v_fma_f16 v4, v29, 2.0, -v2
	v_fma_f16 v5, v6, 2.0, -v69
	v_sub_f16_e32 v5, v4, v5
	v_fma_f16 v87, v7, 2.0, -v68
	v_fma_f16 v4, v4, 2.0, -v5
	v_sub_f16_e32 v6, v2, v51
	v_fma_f16 v7, v70, 2.0, -v72
	v_fma_f16 v2, v2, 2.0, -v6
	v_sub_f16_e32 v69, v4, v7
	v_fma_f16 v70, v4, 2.0, -v69
	v_sub_f16_e32 v4, v2, v74
	v_sub_f16_e32 v72, v4, v73
	v_fma_f16 v73, v2, 2.0, -v72
	v_add_f16_e32 v2, v6, v76
	v_sub_f16_e32 v71, v5, v71
	v_sub_f16_e32 v75, v2, v75
	v_fma_f16 v74, v5, 2.0, -v71
	v_fma_f16 v76, v6, 2.0, -v75
	s_waitcnt lgkmcnt(0)
	; wave barrier
	s_waitcnt lgkmcnt(0)
	ds_read_u16 v32, v24 offset:832
	v_add3_u32 v10, 0, v59, v28
	ds_read_u16 v38, v27
	ds_read_u16 v46, v10
	;; [unrolled: 1-line block ×3, first 2 shown]
	ds_read_u16 v8, v24 offset:128
	ds_read_u16 v11, v24 offset:160
	;; [unrolled: 1-line block ×24, first 2 shown]
	ds_read_u16 v33, v26
	ds_read_u16 v9, v24 offset:928
	s_waitcnt lgkmcnt(0)
	; wave barrier
	s_waitcnt lgkmcnt(0)
	ds_write_b16 v65, v61
	ds_write_b16 v65, v63 offset:20
	ds_write_b16 v65, v78 offset:40
	ds_write_b16 v65, v80 offset:60
	ds_write_b16 v65, v60 offset:80
	ds_write_b16 v65, v62 offset:100
	ds_write_b16 v65, v77 offset:120
	ds_write_b16 v65, v79 offset:140
	ds_write_b16 v66, v82
	ds_write_b16 v66, v84 offset:20
	ds_write_b16 v66, v86 offset:40
	ds_write_b16 v66, v87 offset:60
	ds_write_b16 v66, v81 offset:80
	ds_write_b16 v66, v83 offset:100
	ds_write_b16 v66, v85 offset:120
	ds_write_b16 v66, v68 offset:140
	;; [unrolled: 8-line block ×3, first 2 shown]
	s_and_saveexec_b64 s[2:3], s[0:1]
	s_cbranch_execz .LBB0_21
; %bb.20:
	v_mul_f16_sdwa v58, v58, v3 dst_sel:DWORD dst_unused:UNUSED_PAD src0_sel:DWORD src1_sel:WORD_1
	v_fma_f16 v3, v40, v3, -v58
	v_sub_f16_e32 v3, v39, v3
	v_fma_f16 v39, v39, 2.0, -v3
	v_fma_f16 v0, v0, 2.0, -v14
	v_sub_f16_e32 v0, v39, v0
	v_sub_f16_e32 v1, v3, v1
	v_mul_u32_u24_e32 v52, 0x50, v52
	v_fma_f16 v14, v39, 2.0, -v0
	v_fma_f16 v3, v3, 2.0, -v1
	;; [unrolled: 1-line block ×3, first 2 shown]
	v_or_b32_sdwa v52, v52, v53 dst_sel:DWORD dst_unused:UNUSED_PAD src0_sel:DWORD src1_sel:BYTE_0
	v_sub_f16_e32 v13, v14, v13
	v_sub_f16_e32 v39, v3, v64
	v_add_f16_e32 v40, v1, v56
	v_lshlrev_b32_e32 v52, 1, v52
	v_fma_f16 v14, v14, 2.0, -v13
	v_sub_f16_e32 v39, v39, v57
	v_sub_f16_e32 v12, v0, v12
	;; [unrolled: 1-line block ×3, first 2 shown]
	v_add3_u32 v28, 0, v52, v28
	v_fma_f16 v3, v3, 2.0, -v39
	v_fma_f16 v0, v0, 2.0, -v12
	;; [unrolled: 1-line block ×3, first 2 shown]
	ds_write_b16 v28, v14
	ds_write_b16 v28, v3 offset:20
	ds_write_b16 v28, v0 offset:40
	;; [unrolled: 1-line block ×7, first 2 shown]
.LBB0_21:
	s_or_b64 exec, exec, s[2:3]
	s_waitcnt lgkmcnt(0)
	; wave barrier
	s_waitcnt lgkmcnt(0)
	s_and_saveexec_b64 s[0:1], vcc
	s_cbranch_execz .LBB0_23
; %bb.22:
	v_or_b32_e32 v0, 64, v20
	v_mul_u32_u24_e32 v0, 5, v0
	v_lshlrev_b32_e32 v0, 2, v0
	global_load_dwordx4 v[52:55], v0, s[12:13] offset:280
	global_load_dword v3, v0, s[12:13] offset:296
	v_mul_i32_i24_e32 v60, 5, v21
	v_mov_b32_e32 v61, 0
	v_mul_lo_u32 v14, s5, v18
	v_mad_u64_u32 v[0:1], s[0:1], s4, v18, 0
	ds_read_u16 v28, v24 offset:160
	ds_read_u16 v18, v24 offset:608
	v_lshlrev_b64 v[12:13], 2, v[60:61]
	v_mul_lo_u32 v19, s4, v19
	ds_read_u16 v39, v24 offset:576
	ds_read_u16 v62, v24 offset:544
	;; [unrolled: 1-line block ×6, first 2 shown]
	v_mov_b32_e32 v66, s13
	v_add_co_u32_e32 v12, vcc, s12, v12
	v_addc_co_u32_e32 v13, vcc, v66, v13, vcc
	ds_read_u16 v21, v10
	ds_read_u16 v67, v27
	;; [unrolled: 1-line block ×3, first 2 shown]
	ds_read_u16 v10, v24 offset:928
	ds_read_u16 v27, v24 offset:896
	;; [unrolled: 1-line block ×7, first 2 shown]
	global_load_dwordx4 v[56:59], v[12:13], off offset:280
	ds_read_u16 v60, v24 offset:128
	ds_read_u16 v73, v25
	ds_read_u16 v74, v24 offset:832
	ds_read_u16 v75, v24 offset:800
	;; [unrolled: 1-line block ×7, first 2 shown]
	v_add3_u32 v1, v1, v19, v14
	global_load_dword v19, v[12:13], off offset:296
	s_mov_b32 s0, 0xbaee
	s_movk_i32 s1, 0x3aee
	v_lshlrev_b64 v[0:1], 2, v[0:1]
	s_waitcnt vmcnt(3)
	v_mul_f16_sdwa v12, v4, v53 dst_sel:DWORD dst_unused:UNUSED_PAD src0_sel:DWORD src1_sel:WORD_1
	s_waitcnt lgkmcnt(14)
	v_mul_f16_sdwa v14, v40, v53 dst_sel:DWORD dst_unused:UNUSED_PAD src0_sel:DWORD src1_sel:WORD_1
	v_mul_f16_sdwa v82, v54, v18 dst_sel:DWORD dst_unused:UNUSED_PAD src0_sel:WORD_1 src1_sel:DWORD
	v_mul_f16_sdwa v84, v5, v54 dst_sel:DWORD dst_unused:UNUSED_PAD src0_sel:DWORD src1_sel:WORD_1
	s_waitcnt vmcnt(2)
	v_mul_f16_sdwa v85, v9, v3 dst_sel:DWORD dst_unused:UNUSED_PAD src0_sel:DWORD src1_sel:WORD_1
	v_mul_f16_sdwa v13, v6, v55 dst_sel:DWORD dst_unused:UNUSED_PAD src0_sel:DWORD src1_sel:WORD_1
	s_waitcnt lgkmcnt(4)
	v_mul_f16_sdwa v80, v25, v55 dst_sel:DWORD dst_unused:UNUSED_PAD src0_sel:DWORD src1_sel:WORD_1
	v_mul_f16_sdwa v83, v3, v10 dst_sel:DWORD dst_unused:UNUSED_PAD src0_sel:WORD_1 src1_sel:DWORD
	v_mul_f16_sdwa v86, v2, v52 dst_sel:DWORD dst_unused:UNUSED_PAD src0_sel:DWORD src1_sel:WORD_1
	v_fma_f16 v12, v53, v40, -v12
	v_fma_f16 v14, v4, v53, v14
	v_fma_f16 v53, v5, v54, v82
	v_fma_f16 v4, v54, v18, -v84
	v_fma_f16 v5, v3, v10, -v85
	v_mul_f16_sdwa v81, v52, v26 dst_sel:DWORD dst_unused:UNUSED_PAD src0_sel:WORD_1 src1_sel:DWORD
	v_fma_f16 v13, v55, v25, -v13
	v_fma_f16 v25, v6, v55, v80
	v_fma_f16 v9, v9, v3, v83
	v_fma_f16 v6, v52, v26, -v86
	v_add_f16_e32 v26, v4, v5
	v_fma_f16 v40, v2, v52, v81
	v_add_f16_e32 v2, v12, v13
	v_add_f16_e32 v10, v53, v9
	v_sub_f16_e32 v18, v4, v5
	v_sub_f16_e32 v52, v53, v9
	v_fma_f16 v26, v26, -0.5, v6
	v_add_f16_e32 v4, v6, v4
	v_sub_f16_e32 v3, v14, v25
	v_fma_f16 v2, v2, -0.5, v60
	v_fma_f16 v10, v10, -0.5, v40
	v_fma_f16 v80, v52, s0, v26
	v_add_f16_e32 v82, v4, v5
	v_add_f16_e32 v4, v14, v25
	;; [unrolled: 1-line block ×3, first 2 shown]
	v_fma_f16 v55, v3, s0, v2
	v_fma_f16 v60, v18, s1, v10
	;; [unrolled: 1-line block ×5, first 2 shown]
	v_mul_f16_e32 v2, -0.5, v80
	v_fma_f16 v5, v4, -0.5, v8
	v_sub_f16_e32 v12, v12, v13
	v_mul_f16_e32 v4, 0xbaee, v80
	v_add_f16_e32 v8, v8, v14
	v_mul_f16_e32 v3, 0.5, v18
	v_fma_f16 v26, v60, s1, v2
	v_add_f16_e32 v54, v54, v13
	v_fma_f16 v13, v12, s1, v5
	v_fma_f16 v60, v60, -0.5, v4
	v_fma_f16 v80, v12, s0, v5
	v_mul_f16_e32 v5, 0xbaee, v18
	v_add_f16_e32 v25, v8, v25
	v_add_f16_e32 v8, v40, v53
	v_fma_f16 v52, v10, s1, v3
	v_sub_f16_e32 v4, v13, v60
	v_fma_f16 v18, v10, 0.5, v5
	v_add_f16_e32 v40, v8, v9
	v_add_f16_e32 v10, v13, v60
	v_mul_i32_i24_e32 v60, 5, v23
	v_sub_f16_e32 v2, v55, v26
	v_sub_f16_e32 v5, v80, v18
	;; [unrolled: 1-line block ×3, first 2 shown]
	v_add_f16_e32 v9, v55, v26
	v_add_f16_e32 v13, v80, v18
	;; [unrolled: 1-line block ×3, first 2 shown]
	v_lshlrev_b64 v[25:26], 2, v[60:61]
	v_sub_f16_e32 v3, v81, v52
	v_add_co_u32_e32 v25, vcc, s12, v25
	v_addc_co_u32_e32 v26, vcc, v66, v26, vcc
	v_sub_f16_e32 v6, v54, v82
	v_add_f16_e32 v12, v81, v52
	v_add_f16_e32 v14, v54, v82
	global_load_dwordx4 v[52:55], v[25:26], off offset:280
	global_load_dword v84, v[25:26], off offset:296
	s_waitcnt vmcnt(3)
	v_mul_f16_sdwa v60, v50, v57 dst_sel:DWORD dst_unused:UNUSED_PAD src0_sel:DWORD src1_sel:WORD_1
	v_fma_f16 v60, v65, v57, -v60
	v_mul_f16_sdwa v81, v51, v59 dst_sel:DWORD dst_unused:UNUSED_PAD src0_sel:DWORD src1_sel:WORD_1
	v_mul_f16_sdwa v65, v65, v57 dst_sel:DWORD dst_unused:UNUSED_PAD src0_sel:DWORD src1_sel:WORD_1
	v_lshrrev_b32_e32 v23, 16, v58
	s_waitcnt lgkmcnt(3)
	v_fma_f16 v81, v59, v76, -v81
	v_fma_f16 v50, v50, v57, v65
	v_mul_f16_sdwa v57, v76, v59 dst_sel:DWORD dst_unused:UNUSED_PAD src0_sel:DWORD src1_sel:WORD_1
	v_mul_f16_e32 v76, v48, v58
	v_fma_f16 v76, v39, v23, v76
	v_mul_f16_e32 v23, v48, v23
	v_lshrrev_b32_e32 v40, 16, v56
	s_waitcnt vmcnt(2)
	v_mul_f16_sdwa v25, v19, v27 dst_sel:DWORD dst_unused:UNUSED_PAD src0_sel:WORD_1 src1_sel:DWORD
	v_fma_f16 v26, v39, v58, -v23
	v_mul_f16_sdwa v23, v49, v19 dst_sel:DWORD dst_unused:UNUSED_PAD src0_sel:DWORD src1_sel:WORD_1
	v_add_f16_e32 v82, v60, v81
	v_mul_f16_e32 v65, v47, v56
	v_fma_f16 v85, v49, v19, v25
	v_fma_f16 v27, v19, v27, -v23
	v_mul_f16_e32 v19, v47, v40
	v_fma_f16 v82, v82, -0.5, v21
	v_fma_f16 v51, v51, v59, v57
	v_fma_f16 v65, v70, v40, v65
	v_fma_f16 v40, v70, v56, -v19
	v_add_f16_e32 v19, v26, v27
	v_add_f16_e32 v21, v21, v60
	v_sub_f16_e32 v57, v50, v51
	v_add_f16_e32 v25, v76, v85
	v_fma_f16 v47, v19, -0.5, v40
	v_sub_f16_e32 v48, v76, v85
	v_add_f16_e32 v70, v21, v81
	v_add_f16_e32 v21, v40, v26
	v_fma_f16 v59, v57, s0, v82
	v_fma_f16 v25, v25, -0.5, v65
	v_sub_f16_e32 v23, v26, v27
	v_fma_f16 v49, v48, s0, v47
	v_fma_f16 v57, v57, s1, v82
	;; [unrolled: 1-line block ×3, first 2 shown]
	v_add_f16_e32 v82, v21, v27
	v_add_f16_e32 v21, v50, v51
	ds_read_u16 v80, v24 offset:384
	ds_read_u16 v83, v24 offset:864
	v_fma_f16 v39, v23, s1, v25
	v_fma_f16 v58, v23, s0, v25
	v_mul_f16_e32 v23, 0.5, v47
	v_fma_f16 v26, v21, -0.5, v46
	v_sub_f16_e32 v27, v60, v81
	v_fma_f16 v48, v58, s1, v23
	v_fma_f16 v81, v27, s1, v26
	;; [unrolled: 1-line block ×3, first 2 shown]
	v_add_f16_e32 v27, v46, v50
	v_mul_i32_i24_e32 v60, 5, v22
	v_mul_f16_e32 v19, -0.5, v49
	v_sub_f16_e32 v23, v57, v48
	v_mul_f16_e32 v21, 0xbaee, v49
	v_add_f16_e32 v89, v27, v51
	v_add_f16_e32 v27, v65, v76
	;; [unrolled: 1-line block ×3, first 2 shown]
	v_lshlrev_b64 v[48:49], 2, v[60:61]
	v_add_f16_e32 v65, v27, v85
	v_sub_f16_e32 v27, v89, v65
	v_add_co_u32_e32 v50, vcc, s12, v48
	v_add_f16_e32 v48, v89, v65
	ds_read_u16 v65, v24 offset:352
	v_addc_co_u32_e32 v51, vcc, v66, v49, vcc
	v_sub_f16_e32 v25, v70, v82
	v_mul_f16_e32 v26, 0xbaee, v47
	v_add_f16_e32 v47, v70, v82
	v_fma_f16 v56, v39, s1, v19
	v_sub_f16_e32 v19, v59, v56
	v_fma_f16 v86, v39, -0.5, v21
	v_fma_f16 v88, v58, 0.5, v26
	v_add_f16_e32 v39, v59, v56
	global_load_dwordx4 v[56:59], v[50:51], off offset:280
	global_load_dword v76, v[50:51], off offset:296
	v_sub_f16_e32 v21, v81, v86
	s_waitcnt vmcnt(3)
	v_mul_f16_sdwa v61, v44, v53 dst_sel:DWORD dst_unused:UNUSED_PAD src0_sel:DWORD src1_sel:WORD_1
	v_mul_f16_sdwa v24, v45, v55 dst_sel:DWORD dst_unused:UNUSED_PAD src0_sel:DWORD src1_sel:WORD_1
	s_waitcnt lgkmcnt(2)
	v_fma_f16 v61, v80, v53, -v61
	v_fma_f16 v66, v77, v55, -v24
	v_add_f16_e32 v24, v61, v66
	v_fma_f16 v70, v24, -0.5, v67
	v_mul_f16_sdwa v24, v80, v53 dst_sel:DWORD dst_unused:UNUSED_PAD src0_sel:DWORD src1_sel:WORD_1
	v_fma_f16 v44, v44, v53, v24
	v_mul_f16_sdwa v24, v77, v55 dst_sel:DWORD dst_unused:UNUSED_PAD src0_sel:DWORD src1_sel:WORD_1
	v_lshrrev_b32_e32 v49, 16, v52
	v_fma_f16 v45, v45, v55, v24
	v_mul_f16_e32 v24, v41, v52
	v_lshrrev_b32_e32 v60, 16, v54
	v_fma_f16 v50, v71, v49, v24
	v_mul_f16_e32 v24, v42, v54
	v_fma_f16 v51, v62, v60, v24
	s_waitcnt vmcnt(2)
	v_lshrrev_b32_e32 v24, 16, v84
	v_mul_f16_e32 v77, v43, v84
	s_waitcnt lgkmcnt(1)
	v_fma_f16 v77, v83, v24, v77
	v_mul_f16_e32 v42, v42, v60
	v_mul_f16_e32 v24, v43, v24
	v_fma_f16 v54, v62, v54, -v42
	v_fma_f16 v43, v83, v84, -v24
	v_mul_f16_e32 v24, v41, v49
	v_fma_f16 v41, v71, v52, -v24
	v_add_f16_e32 v24, v54, v43
	v_fma_f16 v49, v24, -0.5, v41
	v_add_f16_e32 v41, v41, v54
	v_sub_f16_e32 v42, v54, v43
	v_add_f16_e32 v54, v41, v43
	v_add_f16_e32 v41, v44, v45
	v_sub_f16_e32 v52, v51, v77
	v_fma_f16 v43, v41, -0.5, v38
	v_add_f16_e32 v38, v38, v44
	v_sub_f16_e32 v53, v44, v45
	v_add_f16_e32 v80, v51, v77
	v_fma_f16 v62, v52, s0, v49
	v_fma_f16 v49, v52, s1, v49
	v_add_f16_e32 v52, v67, v61
	v_add_f16_e32 v38, v38, v45
	v_mul_u32_u24_e32 v45, 5, v20
	v_fma_f16 v80, v80, -0.5, v50
	v_add_f16_e32 v67, v52, v66
	v_sub_f16_e32 v52, v61, v66
	v_lshlrev_b32_e32 v45, 2, v45
	v_fma_f16 v55, v53, s0, v70
	v_fma_f16 v60, v42, s1, v80
	v_mul_f16_e32 v24, -0.5, v62
	v_fma_f16 v53, v53, s1, v70
	v_fma_f16 v70, v42, s0, v80
	v_mul_f16_e32 v42, 0.5, v49
	v_fma_f16 v61, v52, s1, v43
	v_mul_f16_e32 v41, 0xbaee, v62
	v_fma_f16 v62, v52, s0, v43
	v_mul_f16_e32 v43, 0xbaee, v49
	v_add_f16_e32 v44, v50, v51
	global_load_dwordx4 v[49:52], v45, s[12:13] offset:280
	v_fma_f16 v71, v60, s1, v24
	global_load_dword v45, v45, s[12:13] offset:296
	v_fma_f16 v60, v60, -0.5, v41
	v_fma_f16 v66, v70, 0.5, v43
	v_sub_f16_e32 v41, v61, v60
	v_sub_f16_e32 v43, v62, v66
	v_add_f16_e32 v60, v61, v60
	v_add_f16_e32 v61, v62, v66
	v_add_f16_e32 v22, v81, v86
	v_sub_f16_e32 v81, v67, v54
	v_add_f16_e32 v54, v67, v54
	v_fma_f16 v80, v70, s1, v42
	v_add_f16_e32 v44, v44, v77
	v_sub_f16_e32 v42, v53, v80
	v_sub_f16_e32 v70, v38, v44
	v_add_f16_e32 v53, v53, v80
	v_add_f16_e32 v38, v38, v44
	v_sub_f16_e32 v24, v55, v71
	v_add_f16_e32 v55, v55, v71
	v_add_f16_e32 v46, v87, v88
	s_waitcnt vmcnt(3)
	v_mul_f16_sdwa v66, v36, v57 dst_sel:DWORD dst_unused:UNUSED_PAD src0_sel:DWORD src1_sel:WORD_1
	s_waitcnt lgkmcnt(0)
	v_fma_f16 v66, v65, v57, -v66
	v_mul_f16_sdwa v67, v37, v59 dst_sel:DWORD dst_unused:UNUSED_PAD src0_sel:DWORD src1_sel:WORD_1
	v_mul_f16_sdwa v65, v65, v57 dst_sel:DWORD dst_unused:UNUSED_PAD src0_sel:DWORD src1_sel:WORD_1
	v_lshrrev_b32_e32 v62, 16, v58
	v_fma_f16 v67, v78, v59, -v67
	v_fma_f16 v36, v36, v57, v65
	v_mul_f16_sdwa v57, v78, v59 dst_sel:DWORD dst_unused:UNUSED_PAD src0_sel:DWORD src1_sel:WORD_1
	s_waitcnt vmcnt(2)
	v_lshrrev_b32_e32 v78, 16, v76
	v_lshrrev_b32_e32 v44, 16, v56
	v_mul_f16_e32 v77, v35, v58
	v_mul_f16_e32 v80, v32, v76
	v_mul_f16_e32 v35, v35, v62
	v_mul_f16_e32 v32, v32, v78
	v_mul_f16_e32 v65, v34, v56
	v_fma_f16 v35, v63, v58, -v35
	v_fma_f16 v32, v74, v76, -v32
	v_mul_f16_e32 v34, v34, v44
	v_fma_f16 v65, v72, v44, v65
	v_fma_f16 v77, v63, v62, v77
	;; [unrolled: 1-line block ×3, first 2 shown]
	v_fma_f16 v34, v72, v56, -v34
	v_add_f16_e32 v44, v35, v32
	v_fma_f16 v37, v37, v59, v57
	v_add_f16_e32 v82, v77, v80
	v_fma_f16 v44, v44, -0.5, v34
	v_sub_f16_e32 v56, v77, v80
	v_add_f16_e32 v71, v66, v67
	v_fma_f16 v82, v82, -0.5, v65
	v_sub_f16_e32 v58, v35, v32
	v_fma_f16 v63, v56, s0, v44
	v_fma_f16 v44, v56, s1, v44
	v_add_f16_e32 v34, v34, v35
	v_add_f16_e32 v35, v36, v37
	v_fma_f16 v71, v71, -0.5, v68
	v_fma_f16 v62, v58, s1, v82
	v_fma_f16 v58, v58, s0, v82
	v_mul_f16_e32 v56, 0.5, v44
	v_add_f16_e32 v68, v68, v66
	v_fma_f16 v35, v35, -0.5, v33
	v_sub_f16_e32 v66, v66, v67
	v_mul_f16_e32 v44, 0xbaee, v44
	v_sub_f16_e32 v57, v36, v37
	v_mul_f16_e32 v72, -0.5, v63
	v_add_f16_e32 v68, v68, v67
	v_fma_f16 v67, v66, s1, v35
	v_mul_f16_e32 v63, 0xbaee, v63
	v_fma_f16 v35, v66, s0, v35
	v_fma_f16 v44, v58, 0.5, v44
	v_add_f16_e32 v33, v33, v36
	v_add_f16_e32 v36, v65, v77
	v_fma_f16 v72, v62, s1, v72
	v_fma_f16 v56, v58, s1, v56
	v_fma_f16 v62, v62, -0.5, v63
	v_sub_f16_e32 v58, v35, v44
	v_add_f16_e32 v33, v33, v37
	v_add_f16_e32 v36, v36, v80
	;; [unrolled: 1-line block ×3, first 2 shown]
	v_fma_f16 v59, v57, s0, v71
	s_waitcnt vmcnt(1)
	v_mul_f16_sdwa v44, v30, v50 dst_sel:DWORD dst_unused:UNUSED_PAD src0_sel:DWORD src1_sel:WORD_1
	v_fma_f16 v57, v57, s1, v71
	v_add_f16_e32 v32, v34, v32
	v_sub_f16_e32 v63, v67, v62
	v_sub_f16_e32 v37, v33, v36
	v_add_f16_e32 v62, v67, v62
	v_add_f16_e32 v36, v33, v36
	v_lshrrev_b32_e32 v33, 16, v51
	v_fma_f16 v44, v69, v50, -v44
	v_mul_f16_sdwa v67, v69, v50 dst_sel:DWORD dst_unused:UNUSED_PAD src0_sel:DWORD src1_sel:WORD_1
	s_waitcnt vmcnt(0)
	v_lshrrev_b32_e32 v69, 16, v45
	v_sub_f16_e32 v74, v59, v72
	v_sub_f16_e32 v71, v57, v56
	;; [unrolled: 1-line block ×3, first 2 shown]
	v_add_f16_e32 v59, v59, v72
	v_add_f16_e32 v56, v57, v56
	v_add_f16_e32 v57, v68, v32
	v_lshrrev_b32_e32 v32, 16, v49
	v_mul_f16_e32 v68, v15, v51
	v_mul_f16_e32 v72, v29, v45
	;; [unrolled: 1-line block ×4, first 2 shown]
	v_mul_f16_sdwa v65, v31, v52 dst_sel:DWORD dst_unused:UNUSED_PAD src0_sel:DWORD src1_sel:WORD_1
	v_fma_f16 v30, v30, v50, v67
	v_mul_f16_sdwa v50, v79, v52 dst_sel:DWORD dst_unused:UNUSED_PAD src0_sel:DWORD src1_sel:WORD_1
	v_mul_f16_e32 v67, v11, v49
	v_fma_f16 v15, v64, v51, -v15
	v_fma_f16 v29, v75, v45, -v29
	v_mul_f16_e32 v11, v11, v32
	v_fma_f16 v65, v79, v52, -v65
	v_fma_f16 v31, v31, v52, v50
	v_fma_f16 v67, v28, v32, v67
	;; [unrolled: 1-line block ×4, first 2 shown]
	v_fma_f16 v11, v28, v49, -v11
	v_add_f16_e32 v28, v15, v29
	v_add_f16_e32 v66, v44, v65
	;; [unrolled: 1-line block ×3, first 2 shown]
	v_sub_f16_e32 v33, v15, v29
	v_fma_f16 v28, v28, -0.5, v11
	v_sub_f16_e32 v32, v68, v72
	v_add_f16_e32 v11, v11, v15
	v_add_f16_e32 v15, v30, v31
	v_fma_f16 v66, v66, -0.5, v73
	v_sub_f16_e32 v50, v30, v31
	v_fma_f16 v76, v76, -0.5, v67
	v_fma_f16 v49, v32, s0, v28
	v_fma_f16 v28, v32, s1, v28
	v_add_f16_e32 v11, v11, v29
	v_fma_f16 v15, v15, -0.5, v7
	v_sub_f16_e32 v29, v44, v65
	v_fma_f16 v52, v50, s0, v66
	v_fma_f16 v45, v33, s1, v76
	;; [unrolled: 1-line block ×3, first 2 shown]
	v_mul_f16_e32 v32, 0.5, v28
	v_add_f16_e32 v69, v73, v44
	v_fma_f16 v44, v29, s1, v15
	v_fma_f16 v15, v29, s0, v15
	v_mul_f16_e32 v28, 0xbaee, v28
	s_mov_b32 s0, 0xcccccccd
	v_fma_f16 v32, v33, s1, v32
	v_fma_f16 v33, v33, 0.5, v28
	v_mul_hi_u32 v28, v20, s0
	v_mul_f16_e32 v51, -0.5, v49
	v_add_f16_e32 v7, v7, v30
	v_fma_f16 v51, v45, s1, v51
	v_fma_f16 v50, v50, s1, v66
	v_add_f16_e32 v31, v7, v31
	v_lshrrev_b32_e32 v7, 6, v28
	s_movk_i32 s1, 0x50
	v_mul_lo_u32 v7, v7, s1
	v_add_f16_e32 v28, v67, v68
	v_add_f16_e32 v67, v28, v72
	;; [unrolled: 1-line block ×3, first 2 shown]
	v_sub_u32_e32 v72, v20, v7
	v_mad_u64_u32 v[28:29], s[2:3], s20, v72, 0
	v_sub_f16_e32 v65, v15, v33
	v_add_f16_e32 v33, v15, v33
	v_mov_b32_e32 v7, v29
	v_mad_u64_u32 v[29:30], s[2:3], s21, v72, v[7:8]
	v_mov_b32_e32 v15, s11
	v_add_co_u32_e32 v30, vcc, s10, v0
	v_addc_co_u32_e32 v15, vcc, v15, v1, vcc
	v_lshlrev_b64 v[0:1], 2, v[16:17]
	v_add_u32_e32 v17, 0x50, v72
	v_add_co_u32_e32 v0, vcc, v30, v0
	v_addc_co_u32_e32 v1, vcc, v15, v1, vcc
	v_lshlrev_b64 v[15:16], 2, v[28:29]
	v_mad_u64_u32 v[28:29], s[2:3], s20, v17, 0
	v_sub_f16_e32 v73, v69, v11
	v_add_f16_e32 v11, v69, v11
	v_add_f16_e32 v7, v31, v67
	v_pack_b32_f16 v11, v7, v11
	v_mov_b32_e32 v7, v29
	v_mad_u64_u32 v[29:30], s[2:3], s21, v17, v[7:8]
	v_add_u32_e32 v17, 0xa0, v72
	v_sub_f16_e32 v68, v31, v67
	v_mad_u64_u32 v[30:31], s[2:3], s20, v17, 0
	v_add_co_u32_e32 v15, vcc, v0, v15
	v_addc_co_u32_e32 v16, vcc, v1, v16, vcc
	v_mov_b32_e32 v7, v31
	global_store_dword v[15:16], v11, off
	v_lshlrev_b64 v[15:16], 2, v[28:29]
	v_mad_u64_u32 v[28:29], s[2:3], s21, v17, v[7:8]
	v_add_u32_e32 v11, 0xf0, v72
	v_sub_f16_e32 v66, v50, v32
	v_mov_b32_e32 v31, v28
	v_mad_u64_u32 v[28:29], s[2:3], s20, v11, 0
	v_add_f16_e32 v32, v50, v32
	v_add_co_u32_e32 v15, vcc, v0, v15
	v_addc_co_u32_e32 v16, vcc, v1, v16, vcc
	v_pack_b32_f16 v7, v33, v32
	global_store_dword v[15:16], v7, off
	v_mov_b32_e32 v7, v29
	v_mul_f16_e32 v49, 0xbaee, v49
	v_lshlrev_b64 v[15:16], 2, v[30:31]
	v_mad_u64_u32 v[29:30], s[2:3], s21, v11, v[7:8]
	v_fma_f16 v45, v45, -0.5, v49
	v_add_u32_e32 v11, 0x140, v72
	v_sub_f16_e32 v64, v52, v51
	v_sub_f16_e32 v49, v44, v45
	v_add_f16_e32 v51, v52, v51
	v_add_f16_e32 v44, v44, v45
	v_add_co_u32_e32 v15, vcc, v0, v15
	v_mad_u64_u32 v[30:31], s[2:3], s20, v11, 0
	v_addc_co_u32_e32 v16, vcc, v1, v16, vcc
	v_pack_b32_f16 v17, v44, v51
	global_store_dword v[15:16], v17, off
	v_lshlrev_b64 v[15:16], 2, v[28:29]
	v_mov_b32_e32 v7, v31
	v_add_co_u32_e32 v15, vcc, v0, v15
	v_mad_u64_u32 v[28:29], s[2:3], s21, v11, v[7:8]
	v_addc_co_u32_e32 v16, vcc, v1, v16, vcc
	v_pack_b32_f16 v7, v68, v73
	v_add_u32_e32 v11, 16, v20
	global_store_dword v[15:16], v7, off
	v_mul_hi_u32 v7, v11, s0
	v_mov_b32_e32 v31, v28
	v_lshlrev_b64 v[15:16], 2, v[30:31]
	v_add_u32_e32 v17, 0x190, v72
	v_lshrrev_b32_e32 v30, 6, v7
	v_mul_lo_u32 v31, v30, s1
	v_mad_u64_u32 v[28:29], s[2:3], s20, v17, 0
	s_movk_i32 s2, 0x1e0
	v_sub_u32_e32 v11, v11, v31
	v_mad_u64_u32 v[30:31], s[4:5], v30, s2, v[11:12]
	v_mov_b32_e32 v7, v29
	v_mad_u64_u32 v[31:32], s[4:5], s21, v17, v[7:8]
	v_mad_u64_u32 v[32:33], s[4:5], s20, v30, 0
	v_add_co_u32_e32 v15, vcc, v0, v15
	v_addc_co_u32_e32 v16, vcc, v1, v16, vcc
	v_pack_b32_f16 v44, v65, v66
	v_mov_b32_e32 v29, v31
	v_mov_b32_e32 v7, v33
	global_store_dword v[15:16], v44, off
	v_lshlrev_b64 v[15:16], 2, v[28:29]
	v_mad_u64_u32 v[28:29], s[4:5], s21, v30, v[7:8]
	v_add_u32_e32 v11, 0x50, v30
	v_add_co_u32_e32 v15, vcc, v0, v15
	v_mov_b32_e32 v33, v28
	v_mad_u64_u32 v[28:29], s[4:5], s20, v11, 0
	v_addc_co_u32_e32 v16, vcc, v1, v16, vcc
	v_pack_b32_f16 v7, v49, v64
	global_store_dword v[15:16], v7, off
	v_mov_b32_e32 v7, v29
	v_lshlrev_b64 v[15:16], 2, v[32:33]
	v_mad_u64_u32 v[31:32], s[4:5], s21, v11, v[7:8]
	v_add_u32_e32 v11, 0xa0, v30
	v_mad_u64_u32 v[32:33], s[4:5], s20, v11, 0
	v_add_co_u32_e32 v15, vcc, v0, v15
	v_addc_co_u32_e32 v16, vcc, v1, v16, vcc
	v_pack_b32_f16 v17, v36, v57
	v_mov_b32_e32 v29, v31
	v_mov_b32_e32 v7, v33
	global_store_dword v[15:16], v17, off
	v_lshlrev_b64 v[15:16], 2, v[28:29]
	v_mad_u64_u32 v[28:29], s[4:5], s21, v11, v[7:8]
	v_add_u32_e32 v11, 0xf0, v30
	v_add_co_u32_e32 v15, vcc, v0, v15
	v_mov_b32_e32 v33, v28
	v_mad_u64_u32 v[28:29], s[4:5], s20, v11, 0
	v_addc_co_u32_e32 v16, vcc, v1, v16, vcc
	v_pack_b32_f16 v7, v35, v56
	global_store_dword v[15:16], v7, off
	v_mov_b32_e32 v7, v29
	v_lshlrev_b64 v[15:16], 2, v[32:33]
	v_mad_u64_u32 v[31:32], s[4:5], s21, v11, v[7:8]
	v_add_u32_e32 v11, 0x140, v30
	v_add_co_u32_e32 v15, vcc, v0, v15
	v_mad_u64_u32 v[32:33], s[4:5], s20, v11, 0
	v_addc_co_u32_e32 v16, vcc, v1, v16, vcc
	v_pack_b32_f16 v17, v62, v59
	v_mov_b32_e32 v29, v31
	global_store_dword v[15:16], v17, off
	v_lshlrev_b64 v[15:16], 2, v[28:29]
	v_mov_b32_e32 v7, v33
	v_add_co_u32_e32 v15, vcc, v0, v15
	v_mad_u64_u32 v[28:29], s[4:5], s21, v11, v[7:8]
	v_addc_co_u32_e32 v16, vcc, v1, v16, vcc
	v_pack_b32_f16 v7, v37, v34
	v_add_u32_e32 v11, 32, v20
	global_store_dword v[15:16], v7, off
	v_mul_hi_u32 v7, v11, s0
	v_add_u32_e32 v17, 0x190, v30
	v_mov_b32_e32 v33, v28
	v_mad_u64_u32 v[28:29], s[4:5], s20, v17, 0
	v_lshrrev_b32_e32 v30, 6, v7
	v_mul_lo_u32 v31, v30, s1
	v_mov_b32_e32 v7, v29
	v_lshlrev_b64 v[15:16], 2, v[32:33]
	v_pack_b32_f16 v34, v58, v71
	v_sub_u32_e32 v11, v11, v31
	v_mad_u64_u32 v[30:31], s[4:5], v30, s2, v[11:12]
	v_mad_u64_u32 v[31:32], s[4:5], s21, v17, v[7:8]
	;; [unrolled: 1-line block ×3, first 2 shown]
	v_add_co_u32_e32 v15, vcc, v0, v15
	v_addc_co_u32_e32 v16, vcc, v1, v16, vcc
	v_mov_b32_e32 v29, v31
	v_mov_b32_e32 v7, v33
	global_store_dword v[15:16], v34, off
	v_lshlrev_b64 v[15:16], 2, v[28:29]
	v_mad_u64_u32 v[28:29], s[4:5], s21, v30, v[7:8]
	v_add_u32_e32 v11, 0x50, v30
	v_add_co_u32_e32 v15, vcc, v0, v15
	v_mov_b32_e32 v33, v28
	v_mad_u64_u32 v[28:29], s[4:5], s20, v11, 0
	v_addc_co_u32_e32 v16, vcc, v1, v16, vcc
	v_pack_b32_f16 v7, v63, v74
	global_store_dword v[15:16], v7, off
	v_mov_b32_e32 v7, v29
	v_lshlrev_b64 v[15:16], 2, v[32:33]
	v_mad_u64_u32 v[31:32], s[4:5], s21, v11, v[7:8]
	v_add_u32_e32 v11, 0xa0, v30
	v_mad_u64_u32 v[32:33], s[4:5], s20, v11, 0
	v_add_co_u32_e32 v15, vcc, v0, v15
	v_addc_co_u32_e32 v16, vcc, v1, v16, vcc
	v_pack_b32_f16 v17, v38, v54
	v_mov_b32_e32 v29, v31
	v_mov_b32_e32 v7, v33
	global_store_dword v[15:16], v17, off
	v_lshlrev_b64 v[15:16], 2, v[28:29]
	v_mad_u64_u32 v[28:29], s[4:5], s21, v11, v[7:8]
	v_add_u32_e32 v11, 0xf0, v30
	v_add_co_u32_e32 v15, vcc, v0, v15
	v_mov_b32_e32 v33, v28
	v_mad_u64_u32 v[28:29], s[4:5], s20, v11, 0
	v_addc_co_u32_e32 v16, vcc, v1, v16, vcc
	v_pack_b32_f16 v7, v61, v53
	global_store_dword v[15:16], v7, off
	v_mov_b32_e32 v7, v29
	v_lshlrev_b64 v[15:16], 2, v[32:33]
	v_mad_u64_u32 v[31:32], s[4:5], s21, v11, v[7:8]
	v_add_u32_e32 v11, 0x140, v30
	v_add_co_u32_e32 v15, vcc, v0, v15
	v_mad_u64_u32 v[32:33], s[4:5], s20, v11, 0
	v_addc_co_u32_e32 v16, vcc, v1, v16, vcc
	v_pack_b32_f16 v17, v60, v55
	v_mov_b32_e32 v29, v31
	global_store_dword v[15:16], v17, off
	v_lshlrev_b64 v[15:16], 2, v[28:29]
	v_mov_b32_e32 v7, v33
	v_add_co_u32_e32 v15, vcc, v0, v15
	v_mad_u64_u32 v[28:29], s[4:5], s21, v11, v[7:8]
	v_addc_co_u32_e32 v16, vcc, v1, v16, vcc
	v_pack_b32_f16 v7, v70, v81
	v_add_u32_e32 v11, 48, v20
	global_store_dword v[15:16], v7, off
	v_mul_hi_u32 v7, v11, s0
	v_add_u32_e32 v17, 0x190, v30
	v_mov_b32_e32 v33, v28
	v_mad_u64_u32 v[28:29], s[4:5], s20, v17, 0
	v_lshrrev_b32_e32 v30, 6, v7
	v_mul_lo_u32 v31, v30, s1
	v_mov_b32_e32 v7, v29
	v_lshlrev_b64 v[15:16], 2, v[32:33]
	v_pack_b32_f16 v34, v43, v42
	v_sub_u32_e32 v11, v11, v31
	v_mad_u64_u32 v[30:31], s[4:5], v30, s2, v[11:12]
	v_mad_u64_u32 v[31:32], s[4:5], s21, v17, v[7:8]
	;; [unrolled: 1-line block ×3, first 2 shown]
	v_add_co_u32_e32 v15, vcc, v0, v15
	v_addc_co_u32_e32 v16, vcc, v1, v16, vcc
	v_mov_b32_e32 v29, v31
	v_mov_b32_e32 v7, v33
	global_store_dword v[15:16], v34, off
	v_lshlrev_b64 v[15:16], 2, v[28:29]
	v_mad_u64_u32 v[28:29], s[4:5], s21, v30, v[7:8]
	v_add_u32_e32 v11, 0x50, v30
	v_add_co_u32_e32 v15, vcc, v0, v15
	v_mov_b32_e32 v33, v28
	v_mad_u64_u32 v[28:29], s[4:5], s20, v11, 0
	v_addc_co_u32_e32 v16, vcc, v1, v16, vcc
	v_pack_b32_f16 v7, v41, v24
	global_store_dword v[15:16], v7, off
	v_mov_b32_e32 v7, v29
	v_lshlrev_b64 v[15:16], 2, v[32:33]
	v_mad_u64_u32 v[31:32], s[4:5], s21, v11, v[7:8]
	v_add_u32_e32 v11, 0xa0, v30
	v_mad_u64_u32 v[32:33], s[4:5], s20, v11, 0
	v_add_co_u32_e32 v15, vcc, v0, v15
	v_addc_co_u32_e32 v16, vcc, v1, v16, vcc
	v_pack_b32_f16 v17, v48, v47
	v_mov_b32_e32 v29, v31
	v_mov_b32_e32 v7, v33
	global_store_dword v[15:16], v17, off
	v_lshlrev_b64 v[15:16], 2, v[28:29]
	v_mad_u64_u32 v[28:29], s[4:5], s21, v11, v[7:8]
	v_add_u32_e32 v11, 0xf0, v30
	v_add_co_u32_e32 v15, vcc, v0, v15
	v_mov_b32_e32 v33, v28
	v_mad_u64_u32 v[28:29], s[4:5], s20, v11, 0
	v_addc_co_u32_e32 v16, vcc, v1, v16, vcc
	v_pack_b32_f16 v7, v46, v40
	global_store_dword v[15:16], v7, off
	v_mov_b32_e32 v7, v29
	v_lshlrev_b64 v[15:16], 2, v[32:33]
	v_mad_u64_u32 v[31:32], s[4:5], s21, v11, v[7:8]
	v_add_u32_e32 v11, 0x140, v30
	v_mad_u64_u32 v[32:33], s[4:5], s20, v11, 0
	v_add_co_u32_e32 v15, vcc, v0, v15
	v_addc_co_u32_e32 v16, vcc, v1, v16, vcc
	v_pack_b32_f16 v17, v22, v39
	v_mov_b32_e32 v29, v31
	v_mov_b32_e32 v7, v33
	global_store_dword v[15:16], v17, off
	v_lshlrev_b64 v[15:16], 2, v[28:29]
	v_mad_u64_u32 v[28:29], s[4:5], s21, v11, v[7:8]
	v_add_u32_e32 v17, 64, v20
	v_mul_hi_u32 v20, v17, s0
	v_add_co_u32_e32 v15, vcc, v0, v15
	v_sub_f16_e32 v26, v87, v88
	v_addc_co_u32_e32 v16, vcc, v1, v16, vcc
	v_pack_b32_f16 v7, v27, v25
	v_mov_b32_e32 v33, v28
	v_add_u32_e32 v11, 0x190, v30
	global_store_dword v[15:16], v7, off
	v_lshlrev_b64 v[15:16], 2, v[32:33]
	v_pack_b32_f16 v7, v26, v23
	v_mad_u64_u32 v[22:23], s[4:5], s20, v11, 0
	v_lshrrev_b32_e32 v20, 6, v20
	v_mul_lo_u32 v24, v20, s1
	v_add_co_u32_e32 v15, vcc, v0, v15
	v_addc_co_u32_e32 v16, vcc, v1, v16, vcc
	global_store_dword v[15:16], v7, off
	v_mov_b32_e32 v7, v23
	v_mad_u64_u32 v[15:16], s[0:1], s21, v11, v[7:8]
	v_sub_u32_e32 v7, v17, v24
	v_mad_u64_u32 v[16:17], s[0:1], v20, s2, v[7:8]
	v_mov_b32_e32 v23, v15
	v_pack_b32_f16 v11, v21, v19
	v_mad_u64_u32 v[24:25], s[0:1], s20, v16, 0
	v_add_u32_e32 v15, 0x50, v16
	v_lshlrev_b64 v[22:23], 2, v[22:23]
	v_mov_b32_e32 v7, v25
	v_mad_u64_u32 v[19:20], s[0:1], s21, v16, v[7:8]
	v_mad_u64_u32 v[20:21], s[0:1], s20, v15, 0
	v_add_co_u32_e32 v22, vcc, v0, v22
	v_addc_co_u32_e32 v23, vcc, v1, v23, vcc
	global_store_dword v[22:23], v11, off
	v_mov_b32_e32 v25, v19
	v_mov_b32_e32 v7, v21
	v_add_u32_e32 v11, 0xa0, v16
	v_lshlrev_b64 v[22:23], 2, v[24:25]
	v_mad_u64_u32 v[24:25], s[0:1], s21, v15, v[7:8]
	v_pack_b32_f16 v7, v18, v14
	v_mad_u64_u32 v[17:18], s[0:1], s20, v11, 0
	v_add_co_u32_e32 v21, vcc, v0, v22
	v_addc_co_u32_e32 v22, vcc, v1, v23, vcc
	global_store_dword v[21:22], v7, off
	v_mov_b32_e32 v21, v24
	v_mov_b32_e32 v7, v18
	v_lshlrev_b64 v[14:15], 2, v[20:21]
	v_pack_b32_f16 v19, v13, v12
	v_mad_u64_u32 v[11:12], s[0:1], s21, v11, v[7:8]
	v_add_u32_e32 v20, 0xf0, v16
	v_mad_u64_u32 v[12:13], s[0:1], s20, v20, 0
	v_add_co_u32_e32 v14, vcc, v0, v14
	v_addc_co_u32_e32 v15, vcc, v1, v15, vcc
	v_mov_b32_e32 v18, v11
	v_mov_b32_e32 v7, v13
	global_store_dword v[14:15], v19, off
	v_lshlrev_b64 v[14:15], 2, v[17:18]
	v_mad_u64_u32 v[17:18], s[0:1], s21, v20, v[7:8]
	v_add_co_u32_e32 v13, vcc, v0, v14
	v_addc_co_u32_e32 v14, vcc, v1, v15, vcc
	v_pack_b32_f16 v7, v10, v9
	global_store_dword v[13:14], v7, off
	v_mov_b32_e32 v13, v17
	v_add_u32_e32 v7, 0x140, v16
	v_lshlrev_b64 v[9:10], 2, v[12:13]
	v_mad_u64_u32 v[11:12], s[0:1], s20, v7, 0
	v_pack_b32_f16 v13, v8, v6
	v_add_u32_e32 v14, 0x190, v16
	v_mov_b32_e32 v6, v12
	v_mad_u64_u32 v[6:7], s[0:1], s21, v7, v[6:7]
	v_mad_u64_u32 v[7:8], s[0:1], s20, v14, 0
	v_add_co_u32_e32 v9, vcc, v0, v9
	v_addc_co_u32_e32 v10, vcc, v1, v10, vcc
	v_mov_b32_e32 v12, v6
	v_mov_b32_e32 v6, v8
	global_store_dword v[9:10], v13, off
	v_lshlrev_b64 v[9:10], 2, v[11:12]
	v_mad_u64_u32 v[11:12], s[0:1], s21, v14, v[6:7]
	v_add_co_u32_e32 v8, vcc, v0, v9
	v_addc_co_u32_e32 v9, vcc, v1, v10, vcc
	v_pack_b32_f16 v3, v5, v3
	global_store_dword v[8:9], v3, off
	v_mov_b32_e32 v8, v11
	v_lshlrev_b64 v[5:6], 2, v[7:8]
	v_pack_b32_f16 v2, v4, v2
	v_add_co_u32_e32 v0, vcc, v0, v5
	v_addc_co_u32_e32 v1, vcc, v1, v6, vcc
	global_store_dword v[0:1], v2, off
.LBB0_23:
	s_endpgm
	.section	.rodata,"a",@progbits
	.p2align	6, 0x0
	.amdhsa_kernel fft_rtc_back_len480_factors_10_8_6_wgs_64_tpt_16_halfLds_half_op_CI_CI_sbrr_dirReg
		.amdhsa_group_segment_fixed_size 0
		.amdhsa_private_segment_fixed_size 0
		.amdhsa_kernarg_size 104
		.amdhsa_user_sgpr_count 6
		.amdhsa_user_sgpr_private_segment_buffer 1
		.amdhsa_user_sgpr_dispatch_ptr 0
		.amdhsa_user_sgpr_queue_ptr 0
		.amdhsa_user_sgpr_kernarg_segment_ptr 1
		.amdhsa_user_sgpr_dispatch_id 0
		.amdhsa_user_sgpr_flat_scratch_init 0
		.amdhsa_user_sgpr_private_segment_size 0
		.amdhsa_uses_dynamic_stack 0
		.amdhsa_system_sgpr_private_segment_wavefront_offset 0
		.amdhsa_system_sgpr_workgroup_id_x 1
		.amdhsa_system_sgpr_workgroup_id_y 0
		.amdhsa_system_sgpr_workgroup_id_z 0
		.amdhsa_system_sgpr_workgroup_info 0
		.amdhsa_system_vgpr_workitem_id 0
		.amdhsa_next_free_vgpr 126
		.amdhsa_next_free_sgpr 32
		.amdhsa_reserve_vcc 1
		.amdhsa_reserve_flat_scratch 0
		.amdhsa_float_round_mode_32 0
		.amdhsa_float_round_mode_16_64 0
		.amdhsa_float_denorm_mode_32 3
		.amdhsa_float_denorm_mode_16_64 3
		.amdhsa_dx10_clamp 1
		.amdhsa_ieee_mode 1
		.amdhsa_fp16_overflow 0
		.amdhsa_exception_fp_ieee_invalid_op 0
		.amdhsa_exception_fp_denorm_src 0
		.amdhsa_exception_fp_ieee_div_zero 0
		.amdhsa_exception_fp_ieee_overflow 0
		.amdhsa_exception_fp_ieee_underflow 0
		.amdhsa_exception_fp_ieee_inexact 0
		.amdhsa_exception_int_div_zero 0
	.end_amdhsa_kernel
	.text
.Lfunc_end0:
	.size	fft_rtc_back_len480_factors_10_8_6_wgs_64_tpt_16_halfLds_half_op_CI_CI_sbrr_dirReg, .Lfunc_end0-fft_rtc_back_len480_factors_10_8_6_wgs_64_tpt_16_halfLds_half_op_CI_CI_sbrr_dirReg
                                        ; -- End function
	.section	.AMDGPU.csdata,"",@progbits
; Kernel info:
; codeLenInByte = 15376
; NumSgprs: 36
; NumVgprs: 126
; ScratchSize: 0
; MemoryBound: 0
; FloatMode: 240
; IeeeMode: 1
; LDSByteSize: 0 bytes/workgroup (compile time only)
; SGPRBlocks: 4
; VGPRBlocks: 31
; NumSGPRsForWavesPerEU: 36
; NumVGPRsForWavesPerEU: 126
; Occupancy: 2
; WaveLimiterHint : 1
; COMPUTE_PGM_RSRC2:SCRATCH_EN: 0
; COMPUTE_PGM_RSRC2:USER_SGPR: 6
; COMPUTE_PGM_RSRC2:TRAP_HANDLER: 0
; COMPUTE_PGM_RSRC2:TGID_X_EN: 1
; COMPUTE_PGM_RSRC2:TGID_Y_EN: 0
; COMPUTE_PGM_RSRC2:TGID_Z_EN: 0
; COMPUTE_PGM_RSRC2:TIDIG_COMP_CNT: 0
	.type	__hip_cuid_3101a7f49f5c81aa,@object ; @__hip_cuid_3101a7f49f5c81aa
	.section	.bss,"aw",@nobits
	.globl	__hip_cuid_3101a7f49f5c81aa
__hip_cuid_3101a7f49f5c81aa:
	.byte	0                               ; 0x0
	.size	__hip_cuid_3101a7f49f5c81aa, 1

	.ident	"AMD clang version 19.0.0git (https://github.com/RadeonOpenCompute/llvm-project roc-6.4.0 25133 c7fe45cf4b819c5991fe208aaa96edf142730f1d)"
	.section	".note.GNU-stack","",@progbits
	.addrsig
	.addrsig_sym __hip_cuid_3101a7f49f5c81aa
	.amdgpu_metadata
---
amdhsa.kernels:
  - .args:
      - .actual_access:  read_only
        .address_space:  global
        .offset:         0
        .size:           8
        .value_kind:     global_buffer
      - .offset:         8
        .size:           8
        .value_kind:     by_value
      - .actual_access:  read_only
        .address_space:  global
        .offset:         16
        .size:           8
        .value_kind:     global_buffer
      - .actual_access:  read_only
        .address_space:  global
        .offset:         24
        .size:           8
        .value_kind:     global_buffer
      - .actual_access:  read_only
        .address_space:  global
        .offset:         32
        .size:           8
        .value_kind:     global_buffer
      - .offset:         40
        .size:           8
        .value_kind:     by_value
      - .actual_access:  read_only
        .address_space:  global
        .offset:         48
        .size:           8
        .value_kind:     global_buffer
      - .actual_access:  read_only
        .address_space:  global
        .offset:         56
        .size:           8
        .value_kind:     global_buffer
      - .offset:         64
        .size:           4
        .value_kind:     by_value
      - .actual_access:  read_only
        .address_space:  global
        .offset:         72
        .size:           8
        .value_kind:     global_buffer
      - .actual_access:  read_only
        .address_space:  global
        .offset:         80
        .size:           8
        .value_kind:     global_buffer
      - .actual_access:  read_only
        .address_space:  global
        .offset:         88
        .size:           8
        .value_kind:     global_buffer
      - .actual_access:  write_only
        .address_space:  global
        .offset:         96
        .size:           8
        .value_kind:     global_buffer
    .group_segment_fixed_size: 0
    .kernarg_segment_align: 8
    .kernarg_segment_size: 104
    .language:       OpenCL C
    .language_version:
      - 2
      - 0
    .max_flat_workgroup_size: 64
    .name:           fft_rtc_back_len480_factors_10_8_6_wgs_64_tpt_16_halfLds_half_op_CI_CI_sbrr_dirReg
    .private_segment_fixed_size: 0
    .sgpr_count:     36
    .sgpr_spill_count: 0
    .symbol:         fft_rtc_back_len480_factors_10_8_6_wgs_64_tpt_16_halfLds_half_op_CI_CI_sbrr_dirReg.kd
    .uniform_work_group_size: 1
    .uses_dynamic_stack: false
    .vgpr_count:     126
    .vgpr_spill_count: 0
    .wavefront_size: 64
amdhsa.target:   amdgcn-amd-amdhsa--gfx906
amdhsa.version:
  - 1
  - 2
...

	.end_amdgpu_metadata
